;; amdgpu-corpus repo=ROCm/rocFFT kind=compiled arch=gfx1030 opt=O3
	.text
	.amdgcn_target "amdgcn-amd-amdhsa--gfx1030"
	.amdhsa_code_object_version 6
	.protected	fft_rtc_back_len2250_factors_10_3_5_3_5_wgs_90_tpt_90_halfLds_dp_ip_CI_unitstride_sbrr_dirReg ; -- Begin function fft_rtc_back_len2250_factors_10_3_5_3_5_wgs_90_tpt_90_halfLds_dp_ip_CI_unitstride_sbrr_dirReg
	.globl	fft_rtc_back_len2250_factors_10_3_5_3_5_wgs_90_tpt_90_halfLds_dp_ip_CI_unitstride_sbrr_dirReg
	.p2align	8
	.type	fft_rtc_back_len2250_factors_10_3_5_3_5_wgs_90_tpt_90_halfLds_dp_ip_CI_unitstride_sbrr_dirReg,@function
fft_rtc_back_len2250_factors_10_3_5_3_5_wgs_90_tpt_90_halfLds_dp_ip_CI_unitstride_sbrr_dirReg: ; @fft_rtc_back_len2250_factors_10_3_5_3_5_wgs_90_tpt_90_halfLds_dp_ip_CI_unitstride_sbrr_dirReg
; %bb.0:
	s_clause 0x2
	s_load_dwordx4 s[8:11], s[4:5], 0x0
	s_load_dwordx2 s[2:3], s[4:5], 0x50
	s_load_dwordx2 s[12:13], s[4:5], 0x18
	v_mul_u32_u24_e32 v1, 0x2d9, v0
	v_mov_b32_e32 v3, 0
	v_add_nc_u32_sdwa v5, s6, v1 dst_sel:DWORD dst_unused:UNUSED_PAD src0_sel:DWORD src1_sel:WORD_1
	v_mov_b32_e32 v1, 0
	v_mov_b32_e32 v6, v3
	v_mov_b32_e32 v2, 0
	s_waitcnt lgkmcnt(0)
	v_cmp_lt_u64_e64 s0, s[10:11], 2
	s_and_b32 vcc_lo, exec_lo, s0
	s_cbranch_vccnz .LBB0_8
; %bb.1:
	s_load_dwordx2 s[0:1], s[4:5], 0x10
	v_mov_b32_e32 v1, 0
	s_add_u32 s6, s12, 8
	v_mov_b32_e32 v2, 0
	s_addc_u32 s7, s13, 0
	s_mov_b64 s[16:17], 1
	s_waitcnt lgkmcnt(0)
	s_add_u32 s14, s0, 8
	s_addc_u32 s15, s1, 0
.LBB0_2:                                ; =>This Inner Loop Header: Depth=1
	s_load_dwordx2 s[18:19], s[14:15], 0x0
                                        ; implicit-def: $vgpr7_vgpr8
	s_mov_b32 s0, exec_lo
	s_waitcnt lgkmcnt(0)
	v_or_b32_e32 v4, s19, v6
	v_cmpx_ne_u64_e32 0, v[3:4]
	s_xor_b32 s1, exec_lo, s0
	s_cbranch_execz .LBB0_4
; %bb.3:                                ;   in Loop: Header=BB0_2 Depth=1
	v_cvt_f32_u32_e32 v4, s18
	v_cvt_f32_u32_e32 v7, s19
	s_sub_u32 s0, 0, s18
	s_subb_u32 s20, 0, s19
	v_fmac_f32_e32 v4, 0x4f800000, v7
	v_rcp_f32_e32 v4, v4
	v_mul_f32_e32 v4, 0x5f7ffffc, v4
	v_mul_f32_e32 v7, 0x2f800000, v4
	v_trunc_f32_e32 v7, v7
	v_fmac_f32_e32 v4, 0xcf800000, v7
	v_cvt_u32_f32_e32 v7, v7
	v_cvt_u32_f32_e32 v4, v4
	v_mul_lo_u32 v8, s0, v7
	v_mul_hi_u32 v9, s0, v4
	v_mul_lo_u32 v10, s20, v4
	v_add_nc_u32_e32 v8, v9, v8
	v_mul_lo_u32 v9, s0, v4
	v_add_nc_u32_e32 v8, v8, v10
	v_mul_hi_u32 v10, v4, v9
	v_mul_lo_u32 v11, v4, v8
	v_mul_hi_u32 v12, v4, v8
	v_mul_hi_u32 v13, v7, v9
	v_mul_lo_u32 v9, v7, v9
	v_mul_hi_u32 v14, v7, v8
	v_mul_lo_u32 v8, v7, v8
	v_add_co_u32 v10, vcc_lo, v10, v11
	v_add_co_ci_u32_e32 v11, vcc_lo, 0, v12, vcc_lo
	v_add_co_u32 v9, vcc_lo, v10, v9
	v_add_co_ci_u32_e32 v9, vcc_lo, v11, v13, vcc_lo
	v_add_co_ci_u32_e32 v10, vcc_lo, 0, v14, vcc_lo
	v_add_co_u32 v8, vcc_lo, v9, v8
	v_add_co_ci_u32_e32 v9, vcc_lo, 0, v10, vcc_lo
	v_add_co_u32 v4, vcc_lo, v4, v8
	v_add_co_ci_u32_e32 v7, vcc_lo, v7, v9, vcc_lo
	v_mul_hi_u32 v8, s0, v4
	v_mul_lo_u32 v10, s20, v4
	v_mul_lo_u32 v9, s0, v7
	v_add_nc_u32_e32 v8, v8, v9
	v_mul_lo_u32 v9, s0, v4
	v_add_nc_u32_e32 v8, v8, v10
	v_mul_hi_u32 v10, v4, v9
	v_mul_lo_u32 v11, v4, v8
	v_mul_hi_u32 v12, v4, v8
	v_mul_hi_u32 v13, v7, v9
	v_mul_lo_u32 v9, v7, v9
	v_mul_hi_u32 v14, v7, v8
	v_mul_lo_u32 v8, v7, v8
	v_add_co_u32 v10, vcc_lo, v10, v11
	v_add_co_ci_u32_e32 v11, vcc_lo, 0, v12, vcc_lo
	v_add_co_u32 v9, vcc_lo, v10, v9
	v_add_co_ci_u32_e32 v9, vcc_lo, v11, v13, vcc_lo
	v_add_co_ci_u32_e32 v10, vcc_lo, 0, v14, vcc_lo
	v_add_co_u32 v8, vcc_lo, v9, v8
	v_add_co_ci_u32_e32 v9, vcc_lo, 0, v10, vcc_lo
	v_add_co_u32 v4, vcc_lo, v4, v8
	v_add_co_ci_u32_e32 v11, vcc_lo, v7, v9, vcc_lo
	v_mul_hi_u32 v13, v5, v4
	v_mad_u64_u32 v[9:10], null, v6, v4, 0
	v_mad_u64_u32 v[7:8], null, v5, v11, 0
	;; [unrolled: 1-line block ×3, first 2 shown]
	v_add_co_u32 v4, vcc_lo, v13, v7
	v_add_co_ci_u32_e32 v7, vcc_lo, 0, v8, vcc_lo
	v_add_co_u32 v4, vcc_lo, v4, v9
	v_add_co_ci_u32_e32 v4, vcc_lo, v7, v10, vcc_lo
	v_add_co_ci_u32_e32 v7, vcc_lo, 0, v12, vcc_lo
	v_add_co_u32 v4, vcc_lo, v4, v11
	v_add_co_ci_u32_e32 v9, vcc_lo, 0, v7, vcc_lo
	v_mul_lo_u32 v10, s19, v4
	v_mad_u64_u32 v[7:8], null, s18, v4, 0
	v_mul_lo_u32 v11, s18, v9
	v_sub_co_u32 v7, vcc_lo, v5, v7
	v_add3_u32 v8, v8, v11, v10
	v_sub_nc_u32_e32 v10, v6, v8
	v_subrev_co_ci_u32_e64 v10, s0, s19, v10, vcc_lo
	v_add_co_u32 v11, s0, v4, 2
	v_add_co_ci_u32_e64 v12, s0, 0, v9, s0
	v_sub_co_u32 v13, s0, v7, s18
	v_sub_co_ci_u32_e32 v8, vcc_lo, v6, v8, vcc_lo
	v_subrev_co_ci_u32_e64 v10, s0, 0, v10, s0
	v_cmp_le_u32_e32 vcc_lo, s18, v13
	v_cmp_eq_u32_e64 s0, s19, v8
	v_cndmask_b32_e64 v13, 0, -1, vcc_lo
	v_cmp_le_u32_e32 vcc_lo, s19, v10
	v_cndmask_b32_e64 v14, 0, -1, vcc_lo
	v_cmp_le_u32_e32 vcc_lo, s18, v7
	;; [unrolled: 2-line block ×3, first 2 shown]
	v_cndmask_b32_e64 v15, 0, -1, vcc_lo
	v_cmp_eq_u32_e32 vcc_lo, s19, v10
	v_cndmask_b32_e64 v7, v15, v7, s0
	v_cndmask_b32_e32 v10, v14, v13, vcc_lo
	v_add_co_u32 v13, vcc_lo, v4, 1
	v_add_co_ci_u32_e32 v14, vcc_lo, 0, v9, vcc_lo
	v_cmp_ne_u32_e32 vcc_lo, 0, v10
	v_cndmask_b32_e32 v8, v14, v12, vcc_lo
	v_cndmask_b32_e32 v10, v13, v11, vcc_lo
	v_cmp_ne_u32_e32 vcc_lo, 0, v7
	v_cndmask_b32_e32 v8, v9, v8, vcc_lo
	v_cndmask_b32_e32 v7, v4, v10, vcc_lo
.LBB0_4:                                ;   in Loop: Header=BB0_2 Depth=1
	s_andn2_saveexec_b32 s0, s1
	s_cbranch_execz .LBB0_6
; %bb.5:                                ;   in Loop: Header=BB0_2 Depth=1
	v_cvt_f32_u32_e32 v4, s18
	s_sub_i32 s1, 0, s18
	v_rcp_iflag_f32_e32 v4, v4
	v_mul_f32_e32 v4, 0x4f7ffffe, v4
	v_cvt_u32_f32_e32 v4, v4
	v_mul_lo_u32 v7, s1, v4
	v_mul_hi_u32 v7, v4, v7
	v_add_nc_u32_e32 v4, v4, v7
	v_mul_hi_u32 v4, v5, v4
	v_mul_lo_u32 v7, v4, s18
	v_add_nc_u32_e32 v8, 1, v4
	v_sub_nc_u32_e32 v7, v5, v7
	v_subrev_nc_u32_e32 v9, s18, v7
	v_cmp_le_u32_e32 vcc_lo, s18, v7
	v_cndmask_b32_e32 v7, v7, v9, vcc_lo
	v_cndmask_b32_e32 v4, v4, v8, vcc_lo
	v_cmp_le_u32_e32 vcc_lo, s18, v7
	v_add_nc_u32_e32 v8, 1, v4
	v_cndmask_b32_e32 v7, v4, v8, vcc_lo
	v_mov_b32_e32 v8, v3
.LBB0_6:                                ;   in Loop: Header=BB0_2 Depth=1
	s_or_b32 exec_lo, exec_lo, s0
	s_load_dwordx2 s[0:1], s[6:7], 0x0
	v_mul_lo_u32 v4, v8, s18
	v_mul_lo_u32 v11, v7, s19
	v_mad_u64_u32 v[9:10], null, v7, s18, 0
	s_add_u32 s16, s16, 1
	s_addc_u32 s17, s17, 0
	s_add_u32 s6, s6, 8
	s_addc_u32 s7, s7, 0
	;; [unrolled: 2-line block ×3, first 2 shown]
	v_add3_u32 v4, v10, v11, v4
	v_sub_co_u32 v5, vcc_lo, v5, v9
	v_sub_co_ci_u32_e32 v4, vcc_lo, v6, v4, vcc_lo
	s_waitcnt lgkmcnt(0)
	v_mul_lo_u32 v6, s1, v5
	v_mul_lo_u32 v4, s0, v4
	v_mad_u64_u32 v[1:2], null, s0, v5, v[1:2]
	v_cmp_ge_u64_e64 s0, s[16:17], s[10:11]
	s_and_b32 vcc_lo, exec_lo, s0
	v_add3_u32 v2, v6, v2, v4
	s_cbranch_vccnz .LBB0_9
; %bb.7:                                ;   in Loop: Header=BB0_2 Depth=1
	v_mov_b32_e32 v5, v7
	v_mov_b32_e32 v6, v8
	s_branch .LBB0_2
.LBB0_8:
	v_mov_b32_e32 v8, v6
	v_mov_b32_e32 v7, v5
.LBB0_9:
	s_lshl_b64 s[0:1], s[10:11], 3
	v_mul_hi_u32 v5, 0x2d82d83, v0
	s_add_u32 s0, s12, s0
	s_addc_u32 s1, s13, s1
                                        ; implicit-def: $vgpr86_vgpr87
                                        ; implicit-def: $vgpr38_vgpr39
                                        ; implicit-def: $vgpr98_vgpr99
                                        ; implicit-def: $vgpr30_vgpr31
                                        ; implicit-def: $vgpr82_vgpr83
                                        ; implicit-def: $vgpr14_vgpr15
                                        ; implicit-def: $vgpr106_vgpr107
                                        ; implicit-def: $vgpr34_vgpr35
                                        ; implicit-def: $vgpr70_vgpr71
                                        ; implicit-def: $vgpr22_vgpr23
                                        ; implicit-def: $vgpr18_vgpr19
                                        ; implicit-def: $vgpr42_vgpr43
                                        ; implicit-def: $vgpr50_vgpr51
                                        ; implicit-def: $vgpr62_vgpr63
                                        ; implicit-def: $vgpr26_vgpr27
                                        ; implicit-def: $vgpr54_vgpr55
                                        ; implicit-def: $vgpr94_vgpr95
                                        ; implicit-def: $vgpr90_vgpr91
                                        ; implicit-def: $vgpr78_vgpr79
                                        ; implicit-def: $vgpr46_vgpr47
                                        ; implicit-def: $vgpr10_vgpr11
                                        ; implicit-def: $vgpr66_vgpr67
                                        ; implicit-def: $vgpr74_vgpr75
                                        ; implicit-def: $vgpr58_vgpr59
                                        ; implicit-def: $vgpr102_vgpr103
                                        ; implicit-def: $vgpr114_vgpr115
                                        ; implicit-def: $vgpr110_vgpr111
                                        ; implicit-def: $vgpr118_vgpr119
	s_load_dwordx2 s[0:1], s[0:1], 0x0
	s_load_dwordx2 s[4:5], s[4:5], 0x20
	s_waitcnt lgkmcnt(0)
	v_mul_lo_u32 v3, s0, v8
	v_mul_lo_u32 v4, s1, v7
	v_mad_u64_u32 v[1:2], null, s0, v7, v[1:2]
	v_cmp_gt_u64_e32 vcc_lo, s[4:5], v[7:8]
                                        ; implicit-def: $vgpr6_vgpr7
	v_add3_u32 v2, v4, v2, v3
	v_mul_u32_u24_e32 v3, 0x5a, v5
	v_lshlrev_b64 v[176:177], 4, v[1:2]
	v_sub_nc_u32_e32 v174, v0, v3
                                        ; implicit-def: $vgpr2_vgpr3
	s_and_saveexec_b32 s1, vcc_lo
	s_cbranch_execz .LBB0_13
; %bb.10:
	v_mov_b32_e32 v175, 0
	v_add_co_u32 v2, s0, s2, v176
	v_add_co_ci_u32_e64 v3, s0, s3, v177, s0
	v_lshlrev_b64 v[0:1], 4, v[174:175]
	s_mov_b32 s4, exec_lo
                                        ; implicit-def: $vgpr68_vgpr69
                                        ; implicit-def: $vgpr104_vgpr105
                                        ; implicit-def: $vgpr80_vgpr81
                                        ; implicit-def: $vgpr96_vgpr97
                                        ; implicit-def: $vgpr36_vgpr37
                                        ; implicit-def: $vgpr84_vgpr85
	v_add_co_u32 v30, s0, v2, v0
	v_add_co_ci_u32_e64 v31, s0, v3, v1, s0
	v_add_co_u32 v2, s0, 0x800, v30
	v_add_co_ci_u32_e64 v3, s0, 0, v31, s0
	;; [unrolled: 2-line block ×13, first 2 shown]
	s_clause 0x5
	global_load_dwordx4 v[8:11], v[4:5], off offset:624
	global_load_dwordx4 v[4:7], v[16:17], off offset:128
	global_load_dwordx4 v[100:103], v[0:1], off offset:560
	global_load_dwordx4 v[52:55], v[0:1], off offset:2000
	global_load_dwordx4 v[56:59], v[12:13], off offset:64
	global_load_dwordx4 v[24:27], v[12:13], off offset:1504
	v_add_co_u32 v0, s0, 0x8000, v30
	v_add_co_ci_u32_e64 v1, s0, 0, v31, s0
	v_add_co_u32 v86, s0, 0x6800, v30
	v_add_co_ci_u32_e64 v87, s0, 0, v31, s0
	;; [unrolled: 2-line block ×3, first 2 shown]
	s_clause 0xd
	global_load_dwordx4 v[16:19], v[16:17], off offset:1568
	global_load_dwordx4 v[44:47], v[38:39], off offset:1680
	;; [unrolled: 1-line block ×8, first 2 shown]
	global_load_dwordx4 v[116:119], v[30:31], off
	global_load_dwordx4 v[76:79], v[30:31], off offset:1440
	global_load_dwordx4 v[88:91], v[28:29], off offset:944
	;; [unrolled: 1-line block ×5, first 2 shown]
                                        ; implicit-def: $vgpr0_vgpr1
                                        ; implicit-def: $vgpr32_vgpr33
                                        ; implicit-def: $vgpr12_vgpr13
                                        ; implicit-def: $vgpr28_vgpr29
	v_cmpx_gt_u32_e32 45, v174
; %bb.11:
	v_add_co_u32 v84, s0, 0x3000, v30
	v_add_co_ci_u32_e64 v85, s0, 0, v31, s0
	v_add_co_u32 v120, s0, 0x8800, v30
	s_clause 0x3
	global_load_dwordx4 v[0:3], v[2:3], off offset:832
	global_load_dwordx4 v[68:71], v[70:71], off offset:336
	;; [unrolled: 1-line block ×4, first 2 shown]
	v_add_co_ci_u32_e64 v121, s0, 0, v31, s0
	s_clause 0x5
	global_load_dwordx4 v[28:31], v[98:99], off offset:1952
	global_load_dwordx4 v[96:99], v[86:87], off offset:1456
	global_load_dwordx4 v[32:35], v[34:35], off offset:1888
	global_load_dwordx4 v[36:39], v[38:39], off offset:960
	global_load_dwordx4 v[104:107], v[84:85], off offset:1392
	global_load_dwordx4 v[84:87], v[120:121], off offset:464
; %bb.12:
	s_or_b32 exec_lo, exec_lo, s4
.LBB0_13:
	s_or_b32 exec_lo, exec_lo, s1
	s_waitcnt vmcnt(7)
	v_add_f64 v[120:121], v[10:11], v[74:75]
	v_add_f64 v[122:123], v[46:47], v[102:103]
	v_add_f64 v[148:149], v[8:9], v[72:73]
	v_add_f64 v[150:151], v[44:45], v[100:101]
	v_add_f64 v[152:153], v[100:101], -v[44:45]
	s_mov_b32 s4, 0x134454ff
	s_mov_b32 s5, 0xbfee6f0e
	;; [unrolled: 1-line block ×4, first 2 shown]
	v_add_f64 v[132:133], v[100:101], -v[72:73]
	v_add_f64 v[136:137], v[72:73], -v[100:101]
	;; [unrolled: 1-line block ×7, first 2 shown]
	s_waitcnt vmcnt(6)
	v_add_f64 v[156:157], v[64:65], v[56:57]
	v_add_f64 v[158:159], v[4:5], v[112:113]
	v_add_f64 v[164:165], v[102:103], -v[46:47]
	v_add_f64 v[166:167], v[74:75], -v[10:11]
	v_add_f64 v[100:101], v[100:101], v[108:109]
	s_mov_b32 s10, 0x4755a5e
	v_fma_f64 v[120:121], v[120:121], -0.5, v[110:111]
	v_fma_f64 v[122:123], v[122:123], -0.5, v[110:111]
	;; [unrolled: 1-line block ×4, first 2 shown]
	s_mov_b32 s11, 0xbfe2cf23
	s_mov_b32 s13, 0x3fe2cf23
	;; [unrolled: 1-line block ×3, first 2 shown]
	v_add_f64 v[134:135], v[44:45], -v[8:9]
	v_add_f64 v[138:139], v[8:9], -v[44:45]
	v_add_f64 v[160:161], v[114:115], -v[6:7]
	v_add_f64 v[162:163], v[58:59], -v[66:67]
	s_waitcnt vmcnt(5)
	v_add_f64 v[168:169], v[112:113], v[116:117]
	v_add_f64 v[140:141], v[142:143], v[140:141]
	s_mov_b32 s14, 0x372fe950
	v_add_f64 v[142:143], v[146:147], v[144:145]
	s_mov_b32 s15, 0x3fd3c6ef
	v_fma_f64 v[156:157], v[156:157], -0.5, v[116:117]
	v_fma_f64 v[116:117], v[158:159], -0.5, v[116:117]
	v_add_f64 v[124:125], v[112:113], -v[56:57]
	v_add_f64 v[126:127], v[4:5], -v[64:65]
	;; [unrolled: 1-line block ×4, first 2 shown]
	v_fma_f64 v[170:171], v[152:153], s[6:7], v[120:121]
	v_fma_f64 v[150:151], v[154:155], s[4:5], v[122:123]
	;; [unrolled: 1-line block ×6, first 2 shown]
	s_waitcnt vmcnt(2)
	v_add_f64 v[172:173], v[92:93], -v[24:25]
	s_waitcnt vmcnt(0)
	v_add_f64 v[182:183], v[16:17], -v[48:49]
	v_add_f64 v[178:179], v[48:49], v[24:25]
	v_add_f64 v[196:197], v[16:17], v[92:93]
	;; [unrolled: 1-line block ×9, first 2 shown]
	v_fma_f64 v[168:169], v[160:161], s[4:5], v[156:157]
	v_fma_f64 v[180:181], v[162:163], s[6:7], v[116:117]
	;; [unrolled: 1-line block ×4, first 2 shown]
	v_add_f64 v[184:185], v[24:25], -v[92:93]
	v_fma_f64 v[146:147], v[154:155], s[12:13], v[170:171]
	v_fma_f64 v[150:151], v[152:153], s[12:13], v[150:151]
	;; [unrolled: 1-line block ×5, first 2 shown]
	v_add_f64 v[186:187], v[48:49], -v[16:17]
	v_add_f64 v[188:189], v[52:53], -v[60:61]
	;; [unrolled: 1-line block ×9, first 2 shown]
	v_add_f64 v[152:153], v[22:23], v[54:55]
	v_add_f64 v[214:215], v[98:99], v[82:83]
	;; [unrolled: 1-line block ×4, first 2 shown]
	v_fma_f64 v[128:129], v[178:179], -0.5, v[76:77]
	v_fma_f64 v[130:131], v[160:161], s[6:7], v[156:157]
	v_fma_f64 v[156:157], v[162:163], s[4:5], v[116:117]
	v_add_f64 v[136:137], v[64:65], v[136:137]
	v_fma_f64 v[72:73], v[140:141], s[14:15], v[146:147]
	v_fma_f64 v[146:147], v[164:165], s[10:11], v[158:159]
	;; [unrolled: 1-line block ×3, first 2 shown]
	v_add_f64 v[150:151], v[52:53], -v[20:21]
	v_add_f64 v[8:9], v[8:9], v[138:139]
	v_fma_f64 v[138:139], v[162:163], s[10:11], v[168:169]
	v_fma_f64 v[168:169], v[160:161], s[10:11], v[180:181]
	;; [unrolled: 1-line block ×7, first 2 shown]
	v_add_f64 v[166:167], v[182:183], v[172:173]
	v_fma_f64 v[142:143], v[196:197], -0.5, v[76:77]
	v_fma_f64 v[144:145], v[200:201], -0.5, v[88:89]
	;; [unrolled: 1-line block ×3, first 2 shown]
	s_mov_b32 s0, 0x9b97f4a8
	s_mov_b32 s1, 0x3fe9e377
	v_add_f64 v[208:209], v[54:55], -v[62:63]
	v_add_f64 v[210:211], v[22:23], -v[42:43]
	;; [unrolled: 1-line block ×3, first 2 shown]
	v_add_f64 v[158:159], v[96:97], v[80:81]
	v_mul_f64 v[120:121], v[72:73], s[10:11]
	v_fma_f64 v[180:181], v[134:135], s[14:15], v[146:147]
	v_fma_f64 v[146:147], v[212:213], -0.5, v[90:91]
	v_add_f64 v[140:141], v[104:105], -v[84:85]
	v_add_f64 v[172:173], v[186:187], v[184:185]
	v_fma_f64 v[184:185], v[198:199], s[4:5], v[128:129]
	v_fma_f64 v[130:131], v[162:163], s[12:13], v[130:131]
	;; [unrolled: 1-line block ×3, first 2 shown]
	v_add_f64 v[160:161], v[4:5], v[136:137]
	v_add_f64 v[162:163], v[44:45], v[8:9]
	v_fma_f64 v[186:187], v[124:125], s[14:15], v[138:139]
	v_fma_f64 v[8:9], v[132:133], s[14:15], v[148:149]
	;; [unrolled: 1-line block ×3, first 2 shown]
	v_mul_f64 v[132:133], v[116:117], s[4:5]
	v_mul_f64 v[134:135], v[108:109], s[10:11]
	v_fma_f64 v[148:149], v[126:127], s[14:15], v[168:169]
	v_fma_f64 v[128:129], v[198:199], s[6:7], v[128:129]
	v_add_f64 v[164:165], v[190:191], v[188:189]
	v_add_f64 v[168:169], v[194:195], v[192:193]
	v_fma_f64 v[152:153], v[152:153], -0.5, v[90:91]
	v_fma_f64 v[188:189], v[214:215], -0.5, v[70:71]
	v_fma_f64 v[190:191], v[170:171], s[6:7], v[142:143]
	v_fma_f64 v[120:121], v[178:179], s[0:1], v[120:121]
	;; [unrolled: 1-line block ×7, first 2 shown]
	s_mov_b32 s17, 0xbfd3c6ef
	s_mov_b32 s19, 0xbfe9e377
	;; [unrolled: 1-line block ×4, first 2 shown]
	v_fma_f64 v[212:213], v[150:151], s[4:5], v[146:147]
	v_fma_f64 v[214:215], v[170:171], s[10:11], v[184:185]
	v_fma_f64 v[124:125], v[124:125], s[14:15], v[130:131]
	v_fma_f64 v[156:157], v[126:127], s[14:15], v[156:157]
	v_add_f64 v[136:137], v[162:163], v[160:161]
	v_add_f64 v[142:143], v[160:161], -v[162:163]
	v_fma_f64 v[160:161], v[44:45], s[16:17], v[132:133]
	v_fma_f64 v[162:163], v[8:9], s[18:19], v[134:135]
	v_add_f64 v[126:127], v[62:63], -v[54:55]
	v_fma_f64 v[130:131], v[154:155], s[4:5], v[152:153]
	v_fma_f64 v[132:133], v[154:155], s[6:7], v[152:153]
	;; [unrolled: 1-line block ×3, first 2 shown]
	v_add_f64 v[138:139], v[186:187], v[120:121]
	v_add_f64 v[144:145], v[186:187], -v[120:121]
	v_fma_f64 v[120:121], v[170:171], s[12:13], v[128:129]
	v_add_f64 v[128:129], v[42:43], -v[22:23]
	v_fma_f64 v[152:153], v[206:207], s[10:11], v[192:193]
	v_add_f64 v[170:171], v[210:211], v[208:209]
	v_fma_f64 v[182:183], v[154:155], s[12:13], v[196:197]
	v_add_f64 v[184:185], v[92:93], v[76:77]
	v_fma_f64 v[208:209], v[198:199], s[10:11], v[190:191]
	v_fma_f64 v[198:199], v[198:199], s[12:13], v[194:195]
	;; [unrolled: 1-line block ×3, first 2 shown]
	v_add_f64 v[192:193], v[28:29], v[12:13]
	v_fma_f64 v[158:159], v[158:159], -0.5, v[68:69]
	v_add_f64 v[200:201], v[106:107], -v[86:87]
	v_fma_f64 v[196:197], v[204:205], s[10:11], v[202:203]
	v_add_f64 v[194:195], v[106:107], -v[82:83]
	v_add_f64 v[202:203], v[86:87], -v[98:99]
	v_fma_f64 v[206:207], v[140:141], s[4:5], v[188:189]
	v_add_f64 v[210:211], v[80:81], -v[96:97]
	v_fma_f64 v[188:189], v[140:141], s[6:7], v[188:189]
	v_fma_f64 v[154:155], v[154:155], s[10:11], v[212:213]
	v_add_f64 v[52:53], v[52:53], v[88:89]
	v_fma_f64 v[88:89], v[150:151], s[12:13], v[130:131]
	v_fma_f64 v[130:131], v[150:151], s[10:11], v[132:133]
	;; [unrolled: 1-line block ×3, first 2 shown]
	v_add_f64 v[128:129], v[128:129], v[126:127]
	v_fma_f64 v[186:187], v[164:165], s[14:15], v[152:153]
	v_add_f64 v[134:135], v[84:85], v[104:105]
	v_add_f64 v[152:153], v[104:105], -v[80:81]
	v_add_f64 v[150:151], v[24:25], v[184:185]
	v_add_f64 v[204:205], v[86:87], v[106:107]
	v_add_f64 v[212:213], v[84:85], -v[96:97]
	v_add_f64 v[126:127], v[34:35], -v[38:39]
	v_fma_f64 v[216:217], v[192:193], -0.5, v[0:1]
	v_add_f64 v[220:221], v[82:83], -v[98:99]
	v_fma_f64 v[218:219], v[200:201], s[4:5], v[158:159]
	v_fma_f64 v[158:159], v[200:201], s[6:7], v[158:159]
	v_add_f64 v[222:223], v[32:33], v[0:1]
	v_add_f64 v[202:203], v[202:203], v[194:195]
	;; [unrolled: 1-line block ×3, first 2 shown]
	v_fma_f64 v[206:207], v[210:211], s[10:11], v[206:207]
	v_fma_f64 v[188:189], v[210:211], s[12:13], v[188:189]
	;; [unrolled: 1-line block ×3, first 2 shown]
	v_add_f64 v[52:53], v[60:61], v[52:53]
	v_fma_f64 v[192:193], v[170:171], s[14:15], v[154:155]
	v_add_f64 v[60:61], v[32:33], -v[12:13]
	v_fma_f64 v[182:183], v[164:165], s[14:15], v[190:191]
	v_fma_f64 v[88:89], v[128:129], s[14:15], v[88:89]
	;; [unrolled: 1-line block ×3, first 2 shown]
	v_add_f64 v[130:131], v[36:37], -v[28:29]
	v_fma_f64 v[68:69], v[134:135], -0.5, v[68:69]
	v_fma_f64 v[196:197], v[168:169], s[14:15], v[196:197]
	v_fma_f64 v[184:185], v[168:169], s[14:15], v[132:133]
	v_fma_f64 v[132:133], v[204:205], -0.5, v[70:71]
	v_add_f64 v[134:135], v[48:49], v[150:151]
	v_add_f64 v[150:151], v[212:213], v[152:153]
	v_fma_f64 v[152:153], v[126:127], s[4:5], v[216:217]
	v_add_f64 v[128:129], v[14:15], -v[30:31]
	v_fma_f64 v[154:155], v[126:127], s[6:7], v[216:217]
	v_fma_f64 v[164:165], v[220:221], s[10:11], v[218:219]
	;; [unrolled: 1-line block ×3, first 2 shown]
	v_add_f64 v[168:169], v[12:13], v[222:223]
	v_fma_f64 v[190:191], v[202:203], s[14:15], v[206:207]
	v_add_f64 v[170:171], v[80:81], v[224:225]
	v_fma_f64 v[188:189], v[202:203], s[14:15], v[188:189]
	v_mul_f64 v[122:123], v[100:101], s[4:5]
	v_add_f64 v[40:41], v[40:41], v[52:53]
	v_mul_f64 v[52:53], v[76:77], s[10:11]
	v_mul_f64 v[206:207], v[192:193], s[10:11]
	;; [unrolled: 1-line block ×4, first 2 shown]
	v_add_f64 v[60:61], v[130:131], v[60:61]
	v_fma_f64 v[130:131], v[220:221], s[6:7], v[68:69]
	v_fma_f64 v[68:69], v[220:221], s[4:5], v[68:69]
	v_add_f64 v[212:213], v[80:81], -v[104:105]
	v_add_f64 v[216:217], v[96:97], -v[84:85]
	v_fma_f64 v[218:219], v[210:211], s[4:5], v[132:133]
	v_fma_f64 v[132:133], v[210:211], s[6:7], v[132:133]
	v_add_f64 v[210:211], v[82:83], -v[106:107]
	v_add_f64 v[220:221], v[98:99], -v[86:87]
	v_fma_f64 v[152:153], v[128:129], s[10:11], v[152:153]
	v_fma_f64 v[154:155], v[128:129], s[12:13], v[154:155]
	;; [unrolled: 1-line block ×4, first 2 shown]
	v_add_f64 v[150:151], v[28:29], v[168:169]
	v_mul_f64 v[158:159], v[190:191], s[10:11]
	v_add_f64 v[164:165], v[96:97], v[170:171]
	v_mul_f64 v[168:169], v[188:189], s[10:11]
	v_fma_f64 v[122:123], v[180:181], s[14:15], v[122:123]
	v_fma_f64 v[170:171], v[166:167], s[14:15], v[214:215]
	;; [unrolled: 1-line block ×5, first 2 shown]
	v_add_f64 v[198:199], v[16:17], v[134:135]
	v_add_f64 v[40:41], v[20:21], v[40:41]
	v_fma_f64 v[52:53], v[186:187], s[0:1], v[52:53]
	v_fma_f64 v[202:203], v[196:197], s[14:15], v[202:203]
	;; [unrolled: 1-line block ×4, first 2 shown]
	v_add_f64 v[208:209], v[216:217], v[212:213]
	v_fma_f64 v[212:213], v[200:201], s[10:11], v[130:131]
	v_fma_f64 v[214:215], v[200:201], s[12:13], v[68:69]
	v_add_f64 v[210:211], v[220:221], v[210:211]
	v_fma_f64 v[216:217], v[140:141], s[12:13], v[218:219]
	v_fma_f64 v[218:219], v[140:141], s[10:11], v[132:133]
	;; [unrolled: 1-line block ×4, first 2 shown]
	v_add_f64 v[20:21], v[36:37], v[150:151]
	v_fma_f64 v[134:135], v[80:81], s[18:19], v[158:159]
	v_add_f64 v[84:85], v[84:85], v[164:165]
	v_fma_f64 v[130:131], v[104:105], s[0:1], v[168:169]
	v_add_f64 v[146:147], v[148:149], -v[122:123]
	v_add_f64 v[148:149], v[148:149], v[122:123]
	v_add_f64 v[150:151], v[156:157], v[160:161]
	;; [unrolled: 1-line block ×3, first 2 shown]
	v_add_f64 v[152:153], v[156:157], -v[160:161]
	v_add_f64 v[154:155], v[124:125], -v[162:163]
	v_add_f64 v[156:157], v[40:41], v[198:199]
	v_add_f64 v[158:159], v[170:171], v[52:53]
	v_add_f64 v[160:161], v[170:171], -v[52:53]
	v_add_f64 v[162:163], v[166:167], -v[202:203]
	v_add_f64 v[164:165], v[166:167], v[202:203]
	v_add_f64 v[166:167], v[172:173], v[204:205]
	v_add_f64 v[170:171], v[198:199], -v[40:41]
	v_add_f64 v[168:169], v[120:121], v[206:207]
	v_add_f64 v[201:202], v[120:121], -v[206:207]
	v_fma_f64 v[68:69], v[208:209], s[14:15], v[212:213]
	v_fma_f64 v[40:41], v[208:209], s[14:15], v[214:215]
	v_fma_f64 v[52:53], v[210:211], s[14:15], v[216:217]
	v_fma_f64 v[60:61], v[210:211], s[14:15], v[218:219]
	v_add_f64 v[120:121], v[132:133], v[134:135]
	v_add_f64 v[122:123], v[20:21], -v[84:85]
	v_add_f64 v[124:125], v[96:97], -v[130:131]
	;; [unrolled: 1-line block ×3, first 2 shown]
	v_mul_u32_u24_e32 v172, 10, v174
	v_cmp_gt_u32_e64 s1, 45, v174
	v_lshl_add_u32 v198, v172, 3, 0
	ds_write_b128 v198, v[136:139]
	ds_write_b128 v198, v[148:151] offset:16
	ds_write_b128 v198, v[140:143] offset:32
	;; [unrolled: 1-line block ×9, first 2 shown]
	s_and_saveexec_b32 s0, s1
	s_cbranch_execz .LBB0_15
; %bb.14:
	v_add_f64 v[136:137], v[36:37], v[32:33]
	v_add_f64 v[138:139], v[28:29], -v[36:37]
	v_mul_f64 v[142:143], v[52:53], s[4:5]
	v_add_f64 v[132:133], v[132:133], -v[134:135]
	v_add_f64 v[134:135], v[84:85], v[20:21]
	v_fma_f64 v[0:1], v[136:137], -0.5, v[0:1]
	v_add_f64 v[136:137], v[12:13], -v[32:33]
	v_fma_f64 v[140:141], v[128:129], s[4:5], v[0:1]
	v_fma_f64 v[0:1], v[128:129], s[6:7], v[0:1]
	v_mul_f64 v[128:129], v[60:61], s[4:5]
	v_add_f64 v[136:137], v[138:139], v[136:137]
	v_fma_f64 v[138:139], v[126:127], s[12:13], v[140:141]
	v_fma_f64 v[0:1], v[126:127], s[10:11], v[0:1]
	v_fma_f64 v[128:129], v[40:41], s[16:17], v[128:129]
	v_fma_f64 v[126:127], v[68:69], s[14:15], v[142:143]
	v_fma_f64 v[142:143], v[136:137], s[14:15], v[138:139]
	v_fma_f64 v[0:1], v[136:137], s[14:15], v[0:1]
	v_add_f64 v[136:137], v[96:97], v[130:131]
	v_add_f64 v[140:141], v[142:143], v[128:129]
	;; [unrolled: 1-line block ×3, first 2 shown]
	v_add_f64 v[126:127], v[0:1], -v[126:127]
	v_add_f64 v[130:131], v[142:143], -v[128:129]
	ds_write_b128 v198, v[120:123] offset:14432
	ds_write_b128 v198, v[134:137] offset:14400
	ds_write_b128 v198, v[138:141] offset:14416
	ds_write_b128 v198, v[124:127] offset:14448
	ds_write_b128 v198, v[130:133] offset:14464
.LBB0_15:
	s_or_b32 exec_lo, exec_lo, s0
	v_mad_i32_i24 v175, 0xffffffb8, v174, v198
	s_waitcnt lgkmcnt(0)
	s_barrier
	buffer_gl0_inv
	v_cmp_gt_u32_e64 s0, 30, v174
	v_add_nc_u32_e32 v0, 0x1400, v175
	v_add_nc_u32_e32 v1, 0x2c00, v175
	;; [unrolled: 1-line block ×5, first 2 shown]
	ds_read2_b64 v[142:145], v0 offset0:110 offset1:200
	v_add_nc_u32_e32 v0, 0x800, v175
	ds_read2_b64 v[126:129], v175 offset1:90
	ds_read2_b64 v[146:149], v1 offset0:92 offset1:182
	ds_read2_b64 v[134:137], v20 offset0:52 offset1:142
	;; [unrolled: 1-line block ×5, first 2 shown]
	v_add_nc_u32_e32 v0, 0x2000, v175
	v_add_nc_u32_e32 v1, 0x3800, v175
	;; [unrolled: 1-line block ×5, first 2 shown]
	ds_read2_b64 v[170:173], v0 offset0:86 offset1:176
	ds_read2_b64 v[166:169], v1 offset0:68 offset1:158
	;; [unrolled: 1-line block ×5, first 2 shown]
	s_and_saveexec_b32 s4, s0
	s_cbranch_execz .LBB0_17
; %bb.16:
	ds_read_b64 v[120:121], v175 offset:5760
	ds_read_b64 v[122:123], v175 offset:11760
	ds_read_b64 v[124:125], v175 offset:17760
.LBB0_17:
	s_or_b32 exec_lo, exec_lo, s4
	v_add_f64 v[0:1], v[66:67], v[58:59]
	v_add_f64 v[20:21], v[6:7], v[114:115]
	;; [unrolled: 1-line block ×3, first 2 shown]
	v_add_f64 v[4:5], v[112:113], -v[4:5]
	v_add_f64 v[56:57], v[56:57], -v[64:65]
	v_add_f64 v[112:113], v[50:51], v[26:27]
	v_add_f64 v[199:200], v[18:19], v[94:95]
	;; [unrolled: 1-line block ×3, first 2 shown]
	s_mov_b32 s4, 0x134454ff
	s_mov_b32 s5, 0x3fee6f0e
	;; [unrolled: 1-line block ×4, first 2 shown]
	v_add_f64 v[64:65], v[114:115], -v[58:59]
	v_add_f64 v[96:97], v[6:7], -v[66:67]
	;; [unrolled: 1-line block ×3, first 2 shown]
	v_add_f64 v[110:111], v[94:95], v[78:79]
	v_add_f64 v[16:17], v[92:93], -v[16:17]
	v_add_f64 v[24:25], v[24:25], -v[48:49]
	v_add_f64 v[54:55], v[54:55], v[90:91]
	v_add_f64 v[205:206], v[34:35], v[2:3]
	v_add_f64 v[12:13], v[12:13], -v[28:29]
	v_add_f64 v[70:71], v[106:107], v[70:71]
	v_fma_f64 v[203:204], v[0:1], -0.5, v[118:119]
	v_fma_f64 v[20:21], v[20:21], -0.5, v[118:119]
	v_add_f64 v[118:119], v[30:31], v[14:15]
	v_add_f64 v[0:1], v[32:33], -v[36:37]
	v_add_f64 v[58:59], v[58:59], v[84:85]
	v_fma_f64 v[28:29], v[112:113], -0.5, v[78:79]
	v_fma_f64 v[36:37], v[199:200], -0.5, v[78:79]
	v_add_f64 v[74:75], v[74:75], v[102:103]
	s_mov_b32 s10, 0x4755a5e
	s_mov_b32 s11, 0x3fe2cf23
	;; [unrolled: 1-line block ×4, first 2 shown]
	v_add_f64 v[201:202], v[66:67], -v[6:7]
	v_add_f64 v[48:49], v[94:95], -v[26:27]
	;; [unrolled: 1-line block ×7, first 2 shown]
	v_add_f64 v[64:65], v[96:97], v[64:65]
	v_add_f64 v[26:27], v[26:27], v[110:111]
	;; [unrolled: 1-line block ×3, first 2 shown]
	v_fma_f64 v[78:79], v[4:5], s[4:5], v[203:204]
	v_fma_f64 v[84:85], v[4:5], s[14:15], v[203:204]
	v_fma_f64 v[112:113], v[56:57], s[14:15], v[20:21]
	v_fma_f64 v[20:21], v[56:57], s[4:5], v[20:21]
	v_fma_f64 v[118:119], v[118:119], -0.5, v[2:3]
	v_fma_f64 v[62:63], v[16:17], s[4:5], v[28:29]
	v_fma_f64 v[28:29], v[16:17], s[14:15], v[28:29]
	;; [unrolled: 1-line block ×4, first 2 shown]
	v_add_f64 v[58:59], v[66:67], v[58:59]
	v_add_f64 v[10:11], v[10:11], v[74:75]
	;; [unrolled: 1-line block ×3, first 2 shown]
	s_mov_b32 s6, 0x372fe950
	s_mov_b32 s16, 0x9b97f4a8
	;; [unrolled: 1-line block ×4, first 2 shown]
	v_mul_f64 v[106:107], v[178:179], s[10:11]
	v_mul_f64 v[116:117], v[116:117], s[6:7]
	;; [unrolled: 1-line block ×3, first 2 shown]
	v_add_f64 v[96:97], v[201:202], v[114:115]
	v_add_f64 v[48:49], v[94:95], v[48:49]
	;; [unrolled: 1-line block ×3, first 2 shown]
	v_fma_f64 v[66:67], v[56:57], s[10:11], v[78:79]
	v_fma_f64 v[56:57], v[56:57], s[12:13], v[84:85]
	;; [unrolled: 1-line block ×4, first 2 shown]
	v_add_f64 v[20:21], v[14:15], v[205:206]
	v_fma_f64 v[74:75], v[0:1], s[4:5], v[118:119]
	v_fma_f64 v[112:113], v[0:1], s[14:15], v[118:119]
	v_add_f64 v[26:27], v[50:51], v[26:27]
	v_add_f64 v[42:43], v[42:43], v[54:55]
	v_fma_f64 v[50:51], v[24:25], s[10:11], v[62:63]
	v_fma_f64 v[24:25], v[24:25], s[12:13], v[28:29]
	;; [unrolled: 1-line block ×4, first 2 shown]
	v_add_f64 v[6:7], v[6:7], v[58:59]
	v_add_f64 v[54:55], v[46:47], v[10:11]
	;; [unrolled: 1-line block ×3, first 2 shown]
	v_mul_f64 v[62:63], v[190:191], s[16:17]
	v_mul_f64 v[178:179], v[180:181], s[4:5]
	;; [unrolled: 1-line block ×6, first 2 shown]
	v_fma_f64 v[36:37], v[64:65], s[6:7], v[66:67]
	v_fma_f64 v[58:59], v[64:65], s[6:7], v[56:57]
	v_add_f64 v[64:65], v[98:99], v[70:71]
	v_mul_f64 v[66:67], v[104:105], s[10:11]
	v_add_f64 v[10:11], v[30:31], v[20:21]
	v_fma_f64 v[20:21], v[12:13], s[10:11], v[74:75]
	v_fma_f64 v[46:47], v[12:13], s[12:13], v[112:113]
	;; [unrolled: 1-line block ×5, first 2 shown]
	v_fma_f64 v[74:75], v[44:45], s[4:5], -v[116:117]
	v_fma_f64 v[78:79], v[8:9], s[10:11], -v[108:109]
	v_add_f64 v[92:93], v[18:19], v[26:27]
	v_fma_f64 v[94:95], v[48:49], s[6:7], v[24:25]
	v_fma_f64 v[96:97], v[90:91], s[6:7], v[28:29]
	;; [unrolled: 1-line block ×3, first 2 shown]
	v_add_f64 v[98:99], v[22:23], v[42:43]
	v_fma_f64 v[72:73], v[100:101], s[6:7], v[178:179]
	v_fma_f64 v[50:51], v[48:49], s[6:7], v[50:51]
	;; [unrolled: 1-line block ×4, first 2 shown]
	v_fma_f64 v[100:101], v[184:185], s[4:5], -v[82:83]
	v_fma_f64 v[102:103], v[182:183], s[10:11], -v[118:119]
	v_add_f64 v[26:27], v[54:55], v[6:7]
	v_add_f64 v[22:23], v[86:87], v[64:65]
	v_fma_f64 v[24:25], v[188:189], s[16:17], v[66:67]
	v_add_f64 v[16:17], v[38:39], v[10:11]
	v_fma_f64 v[18:19], v[32:33], s[6:7], v[20:21]
	v_fma_f64 v[8:9], v[32:33], s[6:7], v[46:47]
	v_fma_f64 v[10:11], v[80:81], s[10:11], -v[62:63]
	v_add_f64 v[48:49], v[6:7], -v[54:55]
	v_add_f64 v[28:29], v[36:37], v[70:71]
	v_add_f64 v[44:45], v[4:5], v[74:75]
	v_add_f64 v[62:63], v[4:5], -v[74:75]
	v_add_f64 v[46:47], v[58:59], v[78:79]
	v_add_f64 v[54:55], v[36:37], -v[70:71]
	v_add_f64 v[64:65], v[58:59], -v[78:79]
	v_add_nc_u32_e32 v178, 0xb4, v174
	v_add_f64 v[70:71], v[98:99], v[92:93]
	v_add_f64 v[42:43], v[56:57], v[72:73]
	v_add_f64 v[56:57], v[56:57], -v[72:73]
	v_add_f64 v[72:73], v[50:51], v[84:85]
	v_add_f64 v[74:75], v[96:97], v[88:89]
	;; [unrolled: 1-line block ×4, first 2 shown]
	v_add_f64 v[80:81], v[92:93], -v[98:99]
	v_add_f64 v[82:83], v[50:51], -v[84:85]
	;; [unrolled: 1-line block ×6, first 2 shown]
	v_add_f64 v[4:5], v[8:9], v[10:11]
	v_add_f64 v[88:89], v[94:95], -v[102:103]
	s_waitcnt lgkmcnt(0)
	s_barrier
	buffer_gl0_inv
	ds_write_b128 v198, v[26:29]
	ds_write_b128 v198, v[42:45] offset:16
	ds_write_b128 v198, v[46:49] offset:32
	;; [unrolled: 1-line block ×9, first 2 shown]
	s_and_saveexec_b32 s16, s1
	s_cbranch_execz .LBB0_19
; %bb.18:
	v_add_f64 v[26:27], v[38:39], v[34:35]
	v_add_f64 v[14:15], v[14:15], -v[34:35]
	v_add_f64 v[10:11], v[8:9], -v[10:11]
	v_fma_f64 v[2:3], v[26:27], -0.5, v[2:3]
	v_add_f64 v[26:27], v[30:31], -v[38:39]
	v_mul_f64 v[30:31], v[60:61], s[6:7]
	v_fma_f64 v[28:29], v[12:13], s[14:15], v[2:3]
	v_fma_f64 v[2:3], v[12:13], s[4:5], v[2:3]
	v_mul_f64 v[12:13], v[68:69], s[4:5]
	v_add_f64 v[14:15], v[26:27], v[14:15]
	v_fma_f64 v[30:31], v[40:41], s[4:5], -v[30:31]
	v_fma_f64 v[26:27], v[0:1], s[10:11], v[28:29]
	v_fma_f64 v[0:1], v[0:1], s[12:13], v[2:3]
	;; [unrolled: 1-line block ×3, first 2 shown]
	v_add_f64 v[2:3], v[18:19], v[24:25]
	v_fma_f64 v[26:27], v[14:15], s[6:7], v[26:27]
	v_fma_f64 v[32:33], v[14:15], s[6:7], v[0:1]
	v_add_f64 v[0:1], v[22:23], v[16:17]
	v_mul_u32_u24_e32 v16, 10, v178
	v_lshl_add_u32 v16, v16, 3, 0
	v_add_f64 v[12:13], v[26:27], v[28:29]
	v_add_f64 v[14:15], v[32:33], v[30:31]
	v_add_f64 v[22:23], v[26:27], -v[28:29]
	v_add_f64 v[8:9], v[32:33], -v[30:31]
	ds_write_b128 v16, v[4:7] offset:32
	ds_write_b128 v16, v[0:3]
	ds_write_b128 v16, v[12:15] offset:16
	ds_write_b128 v16, v[20:23] offset:48
	;; [unrolled: 1-line block ×3, first 2 shown]
.LBB0_19:
	s_or_b32 exec_lo, exec_lo, s16
	v_add_nc_u32_e32 v8, 0x1400, v175
	s_waitcnt lgkmcnt(0)
	s_barrier
	buffer_gl0_inv
	ds_read2_b64 v[0:3], v175 offset1:90
	ds_read2_b64 v[22:25], v8 offset0:110 offset1:200
	v_add_nc_u32_e32 v8, 0x2c00, v175
	v_add_nc_u32_e32 v9, 0x400, v175
	;; [unrolled: 1-line block ×5, first 2 shown]
	ds_read2_b64 v[26:29], v8 offset0:92 offset1:182
	ds_read2_b64 v[12:15], v9 offset0:52 offset1:142
	;; [unrolled: 1-line block ×5, first 2 shown]
	v_add_nc_u32_e32 v16, 0x2000, v175
	v_add_nc_u32_e32 v17, 0x3800, v175
	;; [unrolled: 1-line block ×5, first 2 shown]
	ds_read2_b64 v[50:53], v16 offset0:86 offset1:176
	ds_read2_b64 v[46:49], v17 offset0:68 offset1:158
	;; [unrolled: 1-line block ×5, first 2 shown]
	s_and_saveexec_b32 s1, s0
	s_cbranch_execz .LBB0_21
; %bb.20:
	ds_read_b64 v[4:5], v175 offset:5760
	ds_read_b64 v[6:7], v175 offset:11760
	;; [unrolled: 1-line block ×3, first 2 shown]
.LBB0_21:
	s_or_b32 exec_lo, exec_lo, s1
	v_and_b32_e32 v96, 0xff, v174
	v_mov_b32_e32 v78, 0xcccd
	v_add_nc_u32_e32 v180, 0x10e, v174
	v_add_nc_u32_e32 v179, 0x168, v174
	;; [unrolled: 1-line block ×3, first 2 shown]
	v_mul_lo_u16 v54, 0xcd, v96
	v_mul_u32_u24_sdwa v55, v178, v78 dst_sel:DWORD dst_unused:UNUSED_PAD src0_sel:WORD_0 src1_sel:DWORD
	v_add_nc_u32_e32 v181, 0x5a, v174
	v_mul_u32_u24_sdwa v56, v179, v78 dst_sel:DWORD dst_unused:UNUSED_PAD src0_sel:WORD_0 src1_sel:DWORD
	v_mul_u32_u24_sdwa v62, v185, v78 dst_sel:DWORD dst_unused:UNUSED_PAD src0_sel:WORD_0 src1_sel:DWORD
	v_lshrrev_b16 v79, 11, v54
	v_lshrrev_b32_e32 v81, 19, v55
	v_mul_u32_u24_sdwa v55, v180, v78 dst_sel:DWORD dst_unused:UNUSED_PAD src0_sel:WORD_0 src1_sel:DWORD
	v_add_nc_u32_e32 v184, 0x21c, v174
	v_add_nc_u32_e32 v183, 0x276, v174
	v_mul_lo_u16 v54, v79, 10
	v_lshrrev_b32_e32 v90, 19, v56
	v_lshrrev_b32_e32 v87, 19, v55
	;; [unrolled: 1-line block ×3, first 2 shown]
	v_mov_b32_e32 v80, 5
	v_and_b32_e32 v97, 0xff, v181
	v_mul_lo_u16 v58, v81, 10
	v_sub_nc_u16 v86, v174, v54
	v_mul_u32_u24_sdwa v71, v184, v78 dst_sel:DWORD dst_unused:UNUSED_PAD src0_sel:WORD_0 src1_sel:DWORD
	v_add_nc_u32_e32 v182, 0x2d0, v174
	v_mul_lo_u16 v63, v87, 10
	v_mul_lo_u16 v70, v90, 10
	;; [unrolled: 1-line block ×3, first 2 shown]
	v_mul_u32_u24_sdwa v82, v183, v78 dst_sel:DWORD dst_unused:UNUSED_PAD src0_sel:WORD_0 src1_sel:DWORD
	v_mul_lo_u16 v57, 0xcd, v97
	v_sub_nc_u16 v89, v178, v58
	v_lshlrev_b32_sdwa v58, v80, v86 dst_sel:DWORD dst_unused:UNUSED_PAD src0_sel:DWORD src1_sel:BYTE_0
	v_lshrrev_b32_e32 v102, 19, v71
	v_sub_nc_u16 v100, v180, v63
	v_sub_nc_u16 v101, v179, v70
	;; [unrolled: 1-line block ×3, first 2 shown]
	v_lshrrev_b32_e32 v109, 19, v82
	v_mul_u32_u24_sdwa v78, v182, v78 dst_sel:DWORD dst_unused:UNUSED_PAD src0_sel:WORD_0 src1_sel:DWORD
	v_lshrrev_b16 v88, 11, v57
	s_clause 0x1
	global_load_dwordx4 v[54:57], v58, s[8:9] offset:16
	global_load_dwordx4 v[58:61], v58, s[8:9]
	v_mul_lo_u16 v82, v102, 10
	v_lshlrev_b32_sdwa v66, v80, v89 dst_sel:DWORD dst_unused:UNUSED_PAD src0_sel:DWORD src1_sel:WORD_0
	v_lshlrev_b32_sdwa v74, v80, v100 dst_sel:DWORD dst_unused:UNUSED_PAD src0_sel:DWORD src1_sel:WORD_0
	;; [unrolled: 1-line block ×4, first 2 shown]
	v_mul_lo_u16 v104, v109, 10
	v_lshrrev_b32_e32 v78, 19, v78
	v_mul_lo_u16 v91, v88, 10
	v_sub_nc_u16 v110, v184, v82
	s_clause 0x5
	global_load_dwordx4 v[62:65], v66, s[8:9] offset:16
	global_load_dwordx4 v[66:69], v66, s[8:9]
	global_load_dwordx4 v[70:73], v74, s[8:9] offset:16
	global_load_dwordx4 v[74:77], v74, s[8:9]
	;; [unrolled: 2-line block ×3, first 2 shown]
	v_sub_nc_u16 v111, v183, v104
	s_clause 0x1
	global_load_dwordx4 v[104:107], v98, s[8:9] offset:16
	global_load_dwordx4 v[114:117], v98, s[8:9]
	v_mul_lo_u16 v98, v78, 10
	v_lshlrev_b32_sdwa v108, v80, v110 dst_sel:DWORD dst_unused:UNUSED_PAD src0_sel:DWORD src1_sel:WORD_0
	v_sub_nc_u16 v91, v181, v91
	v_lshlrev_b32_sdwa v112, v80, v111 dst_sel:DWORD dst_unused:UNUSED_PAD src0_sel:DWORD src1_sel:WORD_0
	s_clause 0x1
	global_load_dwordx4 v[186:189], v108, s[8:9] offset:16
	global_load_dwordx4 v[190:193], v108, s[8:9]
	v_sub_nc_u16 v98, v182, v98
	v_lshlrev_b32_sdwa v108, v80, v91 dst_sel:DWORD dst_unused:UNUSED_PAD src0_sel:DWORD src1_sel:BYTE_0
	s_clause 0x1
	global_load_dwordx4 v[194:197], v112, s[8:9]
	global_load_dwordx4 v[198:201], v112, s[8:9] offset:16
	v_mul_u32_u24_e32 v81, 0xf0, v81
	v_mul_u32_u24_e32 v118, 0xf0, v99
	v_lshlrev_b32_sdwa v80, v80, v98 dst_sel:DWORD dst_unused:UNUSED_PAD src0_sel:DWORD src1_sel:WORD_0
	s_clause 0x3
	global_load_dwordx4 v[202:205], v108, s[8:9]
	global_load_dwordx4 v[206:209], v108, s[8:9] offset:16
	global_load_dwordx4 v[210:213], v80, s[8:9]
	global_load_dwordx4 v[214:217], v80, s[8:9] offset:16
	v_mov_b32_e32 v80, 0xf0
	v_mov_b32_e32 v108, 3
	v_mul_lo_u16 v99, v78, 30
	v_mul_u32_u24_e32 v87, 0xf0, v87
	v_mul_u32_u24_e32 v90, 0xf0, v90
	v_mul_u32_u24_sdwa v79, v79, v80 dst_sel:DWORD dst_unused:UNUSED_PAD src0_sel:WORD_0 src1_sel:DWORD
	v_mul_u32_u24_sdwa v247, v88, v80 dst_sel:DWORD dst_unused:UNUSED_PAD src0_sel:WORD_0 src1_sel:DWORD
	v_lshlrev_b32_sdwa v78, v108, v86 dst_sel:DWORD dst_unused:UNUSED_PAD src0_sel:DWORD src1_sel:BYTE_0
	v_lshlrev_b32_sdwa v80, v108, v89 dst_sel:DWORD dst_unused:UNUSED_PAD src0_sel:DWORD src1_sel:WORD_0
	v_mul_u32_u24_e32 v119, 0xf0, v102
	v_lshlrev_b32_sdwa v86, v108, v100 dst_sel:DWORD dst_unused:UNUSED_PAD src0_sel:DWORD src1_sel:WORD_0
	v_lshlrev_b32_sdwa v88, v108, v101 dst_sel:DWORD dst_unused:UNUSED_PAD src0_sel:DWORD src1_sel:WORD_0
	v_add3_u32 v113, 0, v79, v78
	v_add3_u32 v112, 0, v81, v80
	v_lshlrev_b32_sdwa v89, v108, v103 dst_sel:DWORD dst_unused:UNUSED_PAD src0_sel:DWORD src1_sel:WORD_0
	v_lshlrev_b32_sdwa v100, v108, v110 dst_sel:DWORD dst_unused:UNUSED_PAD src0_sel:DWORD src1_sel:WORD_0
	v_mul_u32_u24_e32 v246, 0xf0, v109
	v_lshlrev_b32_sdwa v248, v108, v91 dst_sel:DWORD dst_unused:UNUSED_PAD src0_sel:DWORD src1_sel:BYTE_0
	v_add3_u32 v103, 0, v87, v86
	v_add3_u32 v102, 0, v90, v88
	;; [unrolled: 1-line block ×4, first 2 shown]
	s_mov_b32 s4, 0xe8584caa
	s_mov_b32 s5, 0xbfebb67a
	s_mov_b32 s7, 0x3febb67a
	s_mov_b32 s6, s4
	v_lshlrev_b32_sdwa v111, v108, v111 dst_sel:DWORD dst_unused:UNUSED_PAD src0_sel:DWORD src1_sel:WORD_0
	s_waitcnt vmcnt(0) lgkmcnt(0)
	s_barrier
	buffer_gl0_inv
	v_mul_f64 v[80:81], v[26:27], v[56:57]
	v_mul_f64 v[78:79], v[22:23], v[60:61]
	;; [unrolled: 1-line block ×27, first 2 shown]
	v_fma_f64 v[86:87], v[142:143], v[58:59], v[78:79]
	v_mul_f64 v[142:143], v[156:157], v[200:201]
	v_mul_f64 v[200:201], v[6:7], v[212:213]
	v_fma_f64 v[90:91], v[146:147], v[54:55], v[80:81]
	v_mul_f64 v[146:147], v[122:123], v[212:213]
	v_mul_f64 v[212:213], v[20:21], v[216:217]
	;; [unrolled: 1-line block ×4, first 2 shown]
	v_fma_f64 v[88:89], v[22:23], v[58:59], -v[60:61]
	v_fma_f64 v[22:23], v[26:27], v[54:55], -v[56:57]
	v_fma_f64 v[76:77], v[162:163], v[66:67], v[109:110]
	v_fma_f64 v[80:81], v[42:43], v[66:67], -v[68:69]
	v_mul_f64 v[109:110], v[124:125], v[216:217]
	v_mul_f64 v[162:163], v[144:145], v[204:205]
	v_fma_f64 v[84:85], v[158:159], v[62:63], v[118:119]
	v_fma_f64 v[26:27], v[38:39], v[62:63], -v[64:65]
	v_mul_f64 v[118:119], v[148:149], v[208:209]
	v_fma_f64 v[54:55], v[164:165], v[74:75], v[218:219]
	v_fma_f64 v[78:79], v[44:45], v[74:75], -v[220:221]
	v_fma_f64 v[56:57], v[160:161], v[70:71], v[222:223]
	v_fma_f64 v[42:43], v[40:41], v[70:71], -v[72:73]
	;; [unrolled: 2-line block ×3, first 2 shown]
	v_fma_f64 v[58:59], v[166:167], v[82:83], v[226:227]
	v_fma_f64 v[92:93], v[144:145], v[202:203], v[242:243]
	;; [unrolled: 1-line block ×3, first 2 shown]
	v_fma_f64 v[38:39], v[46:47], v[82:83], -v[228:229]
	v_fma_f64 v[46:47], v[172:173], v[114:115], v[230:231]
	v_fma_f64 v[66:67], v[52:53], v[114:115], -v[116:117]
	v_fma_f64 v[62:63], v[168:169], v[104:105], v[232:233]
	v_fma_f64 v[52:53], v[150:151], v[190:191], v[234:235]
	v_fma_f64 v[74:75], v[30:31], v[190:191], -v[192:193]
	v_fma_f64 v[68:69], v[154:155], v[186:187], v[236:237]
	v_fma_f64 v[30:31], v[34:35], v[186:187], -v[188:189]
	v_fma_f64 v[34:35], v[152:153], v[194:195], v[238:239]
	v_fma_f64 v[70:71], v[156:157], v[198:199], v[240:241]
	;; [unrolled: 1-line block ×4, first 2 shown]
	v_fma_f64 v[40:41], v[48:49], v[104:105], -v[106:107]
	v_fma_f64 v[82:83], v[32:33], v[194:195], -v[196:197]
	;; [unrolled: 1-line block ×6, first 2 shown]
	v_add_f64 v[24:25], v[86:87], v[90:91]
	v_fma_f64 v[6:7], v[28:29], v[206:207], -v[118:119]
	v_add_f64 v[28:29], v[76:77], v[84:85]
	v_add_f64 v[36:37], v[92:93], v[94:95]
	;; [unrolled: 1-line block ×7, first 2 shown]
	v_add_f64 v[106:107], v[88:89], -v[22:23]
	v_add_f64 v[142:143], v[52:53], v[68:69]
	v_add_f64 v[118:119], v[80:81], -v[26:27]
	v_add_f64 v[144:145], v[78:79], -v[42:43]
	v_add_f64 v[146:147], v[34:35], v[70:71]
	v_add_f64 v[148:149], v[130:131], v[44:45]
	;; [unrolled: 1-line block ×8, first 2 shown]
	v_add_f64 v[152:153], v[60:61], -v[38:39]
	v_fma_f64 v[24:25], v[24:25], -0.5, v[126:127]
	v_add_f64 v[126:127], v[20:21], -v[6:7]
	v_fma_f64 v[28:29], v[28:29], -0.5, v[134:135]
	v_fma_f64 v[36:37], v[36:37], -0.5, v[128:129]
	v_add_f64 v[128:129], v[66:67], -v[40:41]
	v_add_f64 v[134:135], v[74:75], -v[30:31]
	v_fma_f64 v[109:110], v[109:110], -0.5, v[136:137]
	v_fma_f64 v[116:117], v[116:117], -0.5, v[130:131]
	v_add_f64 v[130:131], v[48:49], -v[50:51]
	v_fma_f64 v[122:123], v[122:123], -0.5, v[132:133]
	v_add_f64 v[132:133], v[104:105], v[90:91]
	v_fma_f64 v[104:105], v[142:143], -0.5, v[138:139]
	v_add_f64 v[138:139], v[114:115], v[84:85]
	v_fma_f64 v[114:115], v[146:147], -0.5, v[140:141]
	v_add_f64 v[136:137], v[82:83], -v[32:33]
	v_fma_f64 v[140:141], v[150:151], -0.5, v[120:121]
	v_add_f64 v[142:143], v[148:149], v[58:59]
	v_add_f64 v[148:149], v[156:157], v[68:69]
	;; [unrolled: 1-line block ×6, first 2 shown]
	v_fma_f64 v[156:157], v[106:107], s[4:5], v[24:25]
	v_fma_f64 v[24:25], v[106:107], s[6:7], v[24:25]
	;; [unrolled: 1-line block ×18, first 2 shown]
	v_add3_u32 v114, 0, v246, v111
	v_add3_u32 v115, 0, v247, v248
	ds_write2_b64 v113, v[132:133], v[156:157] offset1:10
	ds_write_b64 v113, v[24:25] offset:160
	ds_write2_b64 v115, v[154:155], v[160:161] offset1:10
	ds_write_b64 v115, v[36:37] offset:160
	;; [unrolled: 2-line block ×8, first 2 shown]
	s_and_saveexec_b32 s1, s0
	s_cbranch_execz .LBB0_23
; %bb.22:
	v_add_f64 v[24:25], v[120:121], v[64:65]
	v_lshlrev_b32_sdwa v28, v108, v98 dst_sel:DWORD dst_unused:UNUSED_PAD src0_sel:DWORD src1_sel:WORD_0
	v_lshlrev_b32_sdwa v29, v108, v99 dst_sel:DWORD dst_unused:UNUSED_PAD src0_sel:DWORD src1_sel:WORD_0
	v_add3_u32 v28, 0, v28, v29
	v_add_f64 v[24:25], v[24:25], v[72:73]
	ds_write2_b64 v28, v[24:25], v[106:107] offset1:10
	ds_write_b64 v28, v[104:105] offset:160
.LBB0_23:
	s_or_b32 exec_lo, exec_lo, s1
	v_add_f64 v[28:29], v[20:21], v[6:7]
	v_add_f64 v[92:93], v[92:93], -v[94:95]
	v_add_f64 v[94:95], v[74:75], v[30:31]
	v_add_f64 v[24:25], v[88:89], v[22:23]
	;; [unrolled: 1-line block ×5, first 2 shown]
	v_add_f64 v[86:87], v[86:87], -v[90:91]
	v_add_f64 v[90:91], v[66:67], v[40:41]
	v_add_f64 v[20:21], v[2:3], v[20:21]
	v_add_f64 v[76:77], v[76:77], -v[84:85]
	v_add_f64 v[84:85], v[82:83], v[32:33]
	v_add_f64 v[116:117], v[48:49], v[50:51]
	;; [unrolled: 3-line block ×3, first 2 shown]
	v_add_f64 v[78:79], v[14:15], v[78:79]
	v_add_f64 v[54:55], v[54:55], -v[56:57]
	v_add_f64 v[56:57], v[18:19], v[82:83]
	v_add_f64 v[34:35], v[34:35], -v[70:71]
	v_add_nc_u32_e32 v149, 0x1800, v175
	v_add_nc_u32_e32 v155, 0x400, v175
	v_fma_f64 v[2:3], v[28:29], -0.5, v[2:3]
	v_add_f64 v[28:29], v[44:45], -v[58:59]
	v_add_f64 v[44:45], v[46:47], -v[62:63]
	v_add_f64 v[46:47], v[16:17], v[74:75]
	v_fma_f64 v[16:17], v[94:95], -0.5, v[16:17]
	v_fma_f64 v[0:1], v[24:25], -0.5, v[0:1]
	v_add_f64 v[24:25], v[8:9], v[60:61]
	v_fma_f64 v[12:13], v[36:37], -0.5, v[12:13]
	v_add_f64 v[36:37], v[10:11], v[66:67]
	v_fma_f64 v[14:15], v[108:109], -0.5, v[14:15]
	v_fma_f64 v[8:9], v[110:111], -0.5, v[8:9]
	;; [unrolled: 1-line block ×3, first 2 shown]
	v_add_f64 v[58:59], v[64:65], -v[72:73]
	v_add_f64 v[66:67], v[20:21], v[6:7]
	v_fma_f64 v[6:7], v[84:85], -0.5, v[18:19]
	v_fma_f64 v[18:19], v[116:117], -0.5, v[4:5]
	v_add_nc_u32_e32 v148, 0x800, v175
	v_add_nc_u32_e32 v154, 0x2000, v175
	v_add_nc_u32_e32 v150, 0x3800, v175
	v_add_nc_u32_e32 v153, 0x3c00, v175
	v_add_nc_u32_e32 v151, 0x1000, v175
	v_add_nc_u32_e32 v157, 0x1400, v175
	v_add_nc_u32_e32 v152, 0x2800, v175
	v_add_nc_u32_e32 v156, 0x3000, v175
	v_add_f64 v[64:65], v[88:89], v[22:23]
	v_add_f64 v[68:69], v[80:81], v[26:27]
	v_fma_f64 v[120:121], v[52:53], s[6:7], v[16:17]
	v_fma_f64 v[122:123], v[52:53], s[4:5], v[16:17]
	v_add_nc_u32_e32 v52, 0x2400, v175
	v_add_f64 v[70:71], v[78:79], v[42:43]
	v_fma_f64 v[72:73], v[86:87], s[6:7], v[0:1]
	v_fma_f64 v[74:75], v[86:87], s[4:5], v[0:1]
	;; [unrolled: 1-line block ×8, first 2 shown]
	v_add_f64 v[86:87], v[24:25], v[38:39]
	v_fma_f64 v[88:89], v[28:29], s[6:7], v[8:9]
	v_fma_f64 v[90:91], v[28:29], s[4:5], v[8:9]
	v_add_f64 v[92:93], v[36:37], v[40:41]
	v_fma_f64 v[94:95], v[44:45], s[6:7], v[10:11]
	v_fma_f64 v[116:117], v[44:45], s[4:5], v[10:11]
	v_add_f64 v[118:119], v[46:47], v[30:31]
	v_add_f64 v[56:57], v[56:57], v[32:33]
	v_fma_f64 v[124:125], v[34:35], s[6:7], v[6:7]
	v_fma_f64 v[126:127], v[34:35], s[4:5], v[6:7]
	;; [unrolled: 1-line block ×4, first 2 shown]
	s_waitcnt lgkmcnt(0)
	s_barrier
	buffer_gl0_inv
	ds_read2_b64 v[6:9], v175 offset1:90
	ds_read2_b64 v[0:3], v148 offset0:104 offset1:194
	ds_read2_b64 v[60:63], v149 offset0:132 offset1:222
	ds_read2_b64 v[14:17], v52 offset0:108 offset1:198
	ds_read2_b64 v[38:41], v150 offset0:8 offset1:98
	ds_read2_b64 v[34:37], v151 offset0:28 offset1:118
	ds_read2_b64 v[22:25], v152 offset0:160 offset1:250
	ds_read2_b64 v[10:13], v155 offset0:52 offset1:142
	ds_read2_b64 v[42:45], v154 offset0:56 offset1:146
	ds_read2_b64 v[30:33], v153 offset0:60 offset1:150
	ds_read2_b64 v[26:29], v157 offset0:80 offset1:170
	ds_read2_b64 v[18:21], v156 offset0:84 offset1:174
	ds_read_b64 v[46:47], v175 offset:17280
	s_waitcnt lgkmcnt(0)
	s_barrier
	buffer_gl0_inv
	ds_write2_b64 v113, v[64:65], v[72:73] offset1:10
	ds_write_b64 v113, v[74:75] offset:160
	ds_write2_b64 v115, v[66:67], v[78:79] offset1:10
	ds_write_b64 v115, v[80:81] offset:160
	;; [unrolled: 2-line block ×8, first 2 shown]
	s_and_saveexec_b32 s1, s0
	s_cbranch_execz .LBB0_25
; %bb.24:
	v_add_f64 v[4:5], v[4:5], v[48:49]
	v_mov_b32_e32 v48, 3
	v_lshlrev_b32_sdwa v49, v48, v98 dst_sel:DWORD dst_unused:UNUSED_PAD src0_sel:DWORD src1_sel:WORD_0
	v_lshlrev_b32_sdwa v48, v48, v99 dst_sel:DWORD dst_unused:UNUSED_PAD src0_sel:DWORD src1_sel:WORD_0
	v_add3_u32 v48, 0, v49, v48
	v_add_f64 v[4:5], v[4:5], v[50:51]
	ds_write2_b64 v48, v[4:5], v[110:111] offset1:10
	ds_write_b64 v48, v[108:109] offset:160
.LBB0_25:
	s_or_b32 exec_lo, exec_lo, s1
	v_mul_lo_u16 v4, 0x89, v96
	v_mul_lo_u16 v5, 0x89, v97
	v_mov_b32_e32 v48, 6
	s_waitcnt lgkmcnt(0)
	s_barrier
	v_lshrrev_b16 v84, 12, v4
	v_lshrrev_b16 v85, 12, v5
	v_mov_b32_e32 v5, 0x8889
	buffer_gl0_inv
	v_mov_b32_e32 v133, 0x4b0
	v_mul_lo_u16 v4, v84, 30
	v_mul_lo_u16 v49, v85, 30
	v_mov_b32_e32 v250, 3
	s_mov_b32 s10, 0x134454ff
	v_mul_u32_u24_sdwa v84, v84, v133 dst_sel:DWORD dst_unused:UNUSED_PAD src0_sel:WORD_0 src1_sel:DWORD
	v_sub_nc_u16 v102, v174, v4
	v_sub_nc_u16 v103, v181, v49
	v_mul_u32_u24_sdwa v4, v178, v5 dst_sel:DWORD dst_unused:UNUSED_PAD src0_sel:WORD_0 src1_sel:DWORD
	v_mul_u32_u24_sdwa v85, v85, v133 dst_sel:DWORD dst_unused:UNUSED_PAD src0_sel:WORD_0 src1_sel:DWORD
	s_mov_b32 s11, 0xbfee6f0e
	v_lshlrev_b32_sdwa v49, v48, v102 dst_sel:DWORD dst_unused:UNUSED_PAD src0_sel:DWORD src1_sel:BYTE_0
	v_lshlrev_b32_sdwa v50, v48, v103 dst_sel:DWORD dst_unused:UNUSED_PAD src0_sel:DWORD src1_sel:BYTE_0
	v_lshrrev_b32_e32 v116, 20, v4
	v_mul_u32_u24_sdwa v4, v180, v5 dst_sel:DWORD dst_unused:UNUSED_PAD src0_sel:WORD_0 src1_sel:DWORD
	v_lshlrev_b32_sdwa v102, v250, v102 dst_sel:DWORD dst_unused:UNUSED_PAD src0_sel:DWORD src1_sel:BYTE_0
	s_clause 0x3
	global_load_dwordx4 v[64:67], v49, s[8:9] offset:336
	global_load_dwordx4 v[68:71], v49, s[8:9] offset:320
	;; [unrolled: 1-line block ×4, first 2 shown]
	v_lshrrev_b32_e32 v117, 20, v4
	v_mul_u32_u24_sdwa v4, v179, v5 dst_sel:DWORD dst_unused:UNUSED_PAD src0_sel:WORD_0 src1_sel:DWORD
	s_clause 0x1
	global_load_dwordx4 v[80:83], v49, s[8:9] offset:368
	global_load_dwordx4 v[86:89], v50, s[8:9] offset:320
	v_mul_lo_u16 v51, v116, 30
	s_clause 0x1
	global_load_dwordx4 v[90:93], v50, s[8:9] offset:352
	global_load_dwordx4 v[94:97], v50, s[8:9] offset:368
	v_mul_lo_u16 v5, v117, 30
	v_lshrrev_b32_e32 v127, 20, v4
	v_lshlrev_b32_sdwa v103, v250, v103 dst_sel:DWORD dst_unused:UNUSED_PAD src0_sel:DWORD src1_sel:BYTE_0
	v_sub_nc_u16 v126, v178, v51
	v_add3_u32 v160, 0, v84, v102
	v_sub_nc_u16 v132, v180, v5
	v_mul_lo_u16 v5, v127, 30
	v_add3_u32 v159, 0, v85, v103
	v_lshlrev_b32_sdwa v49, v48, v126 dst_sel:DWORD dst_unused:UNUSED_PAD src0_sel:DWORD src1_sel:WORD_0
	v_mul_u32_u24_e32 v251, 0x4b0, v116
	v_lshlrev_b32_sdwa v4, v48, v132 dst_sel:DWORD dst_unused:UNUSED_PAD src0_sel:DWORD src1_sel:WORD_0
	v_sub_nc_u16 v173, v179, v5
	v_mul_u32_u24_e32 v252, 0x4b0, v117
	s_clause 0x6
	global_load_dwordx4 v[98:101], v49, s[8:9] offset:320
	global_load_dwordx4 v[112:115], v49, s[8:9] offset:336
	;; [unrolled: 1-line block ×7, first 2 shown]
	v_lshlrev_b32_sdwa v5, v48, v173 dst_sel:DWORD dst_unused:UNUSED_PAD src0_sel:DWORD src1_sel:WORD_0
	s_clause 0x4
	global_load_dwordx4 v[190:193], v4, s[8:9] offset:368
	global_load_dwordx4 v[194:197], v5, s[8:9] offset:320
	;; [unrolled: 1-line block ×5, first 2 shown]
	ds_read2_b64 v[56:59], v175 offset1:90
	ds_read2_b64 v[48:51], v148 offset0:104 offset1:194
	ds_read2_b64 v[122:125], v149 offset0:132 offset1:222
	;; [unrolled: 1-line block ×11, first 2 shown]
	ds_read_b64 v[4:5], v175 offset:17280
	v_lshlrev_b32_sdwa v255, v250, v132 dst_sel:DWORD dst_unused:UNUSED_PAD src0_sel:DWORD src1_sel:WORD_0
	v_mul_u32_u24_e32 v253, 0x4b0, v127
	v_lshlrev_b32_sdwa v254, v250, v126 dst_sel:DWORD dst_unused:UNUSED_PAD src0_sel:DWORD src1_sel:WORD_0
	s_mov_b32 s15, 0x3fee6f0e
	s_mov_b32 s14, s10
	;; [unrolled: 1-line block ×8, first 2 shown]
	v_add_nc_u32_e32 v158, 0x2c00, v175
	s_waitcnt vmcnt(0) lgkmcnt(0)
	s_barrier
	buffer_gl0_inv
	v_mul_f64 v[84:85], v[122:123], v[66:67]
	v_mul_f64 v[66:67], v[60:61], v[66:67]
	;; [unrolled: 1-line block ×19, first 2 shown]
	v_fma_f64 v[136:137], v[60:61], v[64:65], v[84:85]
	v_mul_f64 v[60:61], v[226:227], v[163:164]
	v_mul_f64 v[114:115], v[42:43], v[114:115]
	;; [unrolled: 1-line block ×3, first 2 shown]
	v_fma_f64 v[84:85], v[122:123], v[64:65], -v[66:67]
	v_mul_f64 v[64:65], v[30:31], v[163:164]
	v_fma_f64 v[120:121], v[62:63], v[72:73], v[116:117]
	v_mul_f64 v[62:63], v[230:231], v[167:168]
	v_mul_f64 v[163:164], v[26:27], v[167:168]
	v_fma_f64 v[78:79], v[124:125], v[72:73], -v[74:75]
	v_mul_f64 v[72:73], v[224:225], v[171:172]
	v_mul_f64 v[167:168], v[44:45], v[171:172]
	;; [unrolled: 1-line block ×4, first 2 shown]
	v_fma_f64 v[142:143], v[2:3], v[68:69], v[102:103]
	v_mul_f64 v[2:3], v[228:229], v[192:193]
	v_fma_f64 v[74:75], v[212:213], v[76:77], -v[132:133]
	v_fma_f64 v[146:147], v[38:39], v[80:81], v[138:139]
	v_mul_f64 v[38:39], v[210:211], v[200:201]
	v_fma_f64 v[132:133], v[34:35], v[86:87], v[140:141]
	v_mul_f64 v[34:35], v[236:237], v[204:205]
	;; [unrolled: 2-line block ×4, first 2 shown]
	v_fma_f64 v[134:135], v[50:51], v[68:69], -v[70:71]
	v_fma_f64 v[68:69], v[128:129], v[80:81], -v[82:83]
	v_mul_f64 v[82:83], v[14:15], v[200:201]
	v_mul_f64 v[200:201], v[46:47], v[208:209]
	v_fma_f64 v[140:141], v[40:41], v[94:95], v[240:241]
	v_fma_f64 v[122:123], v[42:43], v[112:113], v[244:245]
	;; [unrolled: 1-line block ×3, first 2 shown]
	v_fma_f64 v[50:51], v[130:131], v[94:95], -v[96:97]
	v_fma_f64 v[124:125], v[36:37], v[98:99], v[242:243]
	v_fma_f64 v[130:131], v[30:31], v[161:162], v[60:61]
	v_mul_f64 v[192:193], v[32:33], v[192:193]
	v_fma_f64 v[128:129], v[214:215], v[86:87], -v[88:89]
	v_fma_f64 v[88:89], v[222:223], v[112:113], -v[114:115]
	v_fma_f64 v[102:103], v[44:45], v[169:170], v[72:73]
	v_fma_f64 v[114:115], v[18:19], v[186:187], v[171:172]
	v_mul_f64 v[188:189], v[18:19], v[188:189]
	v_fma_f64 v[116:117], v[216:217], v[98:99], -v[100:101]
	;; [unrolled: 5-line block ×3, first 2 shown]
	v_fma_f64 v[92:93], v[14:15], v[198:199], v[38:39]
	v_fma_f64 v[94:95], v[20:21], v[202:203], v[34:35]
	v_mul_f64 v[196:197], v[20:21], v[204:205]
	v_fma_f64 v[90:91], v[28:29], v[194:195], v[16:17]
	v_fma_f64 v[96:97], v[46:47], v[206:207], v[22:23]
	v_fma_f64 v[60:61], v[226:227], v[161:162], -v[64:65]
	v_fma_f64 v[64:65], v[4:5], v[206:207], -v[200:201]
	v_add_f64 v[4:5], v[136:137], v[144:145]
	v_add_f64 v[22:23], v[142:143], v[146:147]
	v_add_f64 v[18:19], v[142:143], -v[136:137]
	v_add_f64 v[20:21], v[146:147], -v[144:145]
	;; [unrolled: 1-line block ×4, first 2 shown]
	v_add_f64 v[28:29], v[8:9], v[132:133]
	v_add_f64 v[30:31], v[120:121], v[138:139]
	;; [unrolled: 1-line block ×3, first 2 shown]
	v_add_f64 v[36:37], v[132:133], -v[120:121]
	v_add_f64 v[38:39], v[140:141], -v[138:139]
	v_add_f64 v[112:113], v[122:123], v[126:127]
	v_fma_f64 v[86:87], v[224:225], v[169:170], -v[167:168]
	v_add_f64 v[169:170], v[124:125], v[130:131]
	v_fma_f64 v[98:99], v[230:231], v[165:166], -v[163:164]
	v_fma_f64 v[62:63], v[228:229], v[190:191], -v[192:193]
	v_add_f64 v[42:43], v[120:121], -v[132:133]
	v_add_f64 v[44:45], v[138:139], -v[140:141]
	v_add_f64 v[190:191], v[102:103], v[114:115]
	v_fma_f64 v[70:71], v[234:235], v[186:187], -v[188:189]
	v_add_f64 v[200:201], v[100:101], v[118:119]
	v_fma_f64 v[76:77], v[232:233], v[194:195], -v[76:77]
	v_add_f64 v[165:166], v[124:125], -v[122:123]
	v_add_f64 v[167:168], v[130:131], -v[126:127]
	v_add_f64 v[208:209], v[92:93], v[94:95]
	v_fma_f64 v[82:83], v[210:211], v[198:199], -v[82:83]
	v_fma_f64 v[72:73], v[236:237], v[202:203], -v[196:197]
	v_add_f64 v[218:219], v[90:91], v[96:97]
	v_add_f64 v[2:3], v[6:7], v[142:143]
	v_add_f64 v[14:15], v[134:135], -v[68:69]
	v_add_f64 v[171:172], v[122:123], -v[124:125]
	;; [unrolled: 1-line block ×3, first 2 shown]
	v_fma_f64 v[4:5], v[4:5], -0.5, v[6:7]
	v_add_f64 v[16:17], v[84:85], -v[74:75]
	v_add_f64 v[188:189], v[12:13], v[100:101]
	v_fma_f64 v[6:7], v[22:23], -0.5, v[6:7]
	v_add_f64 v[32:33], v[128:129], -v[50:51]
	v_add_f64 v[18:19], v[18:19], v[20:21]
	v_add_f64 v[20:21], v[24:25], v[26:27]
	;; [unrolled: 1-line block ×3, first 2 shown]
	v_fma_f64 v[24:25], v[30:31], -0.5, v[8:9]
	v_add_f64 v[34:35], v[78:79], -v[80:81]
	v_add_f64 v[46:47], v[10:11], v[124:125]
	v_add_f64 v[196:197], v[100:101], -v[102:103]
	v_add_f64 v[198:199], v[118:119], -v[114:115]
	v_fma_f64 v[8:9], v[40:41], -0.5, v[8:9]
	v_add_f64 v[161:162], v[116:117], -v[60:61]
	v_add_f64 v[26:27], v[36:37], v[38:39]
	v_fma_f64 v[36:37], v[112:113], -0.5, v[10:11]
	v_add_f64 v[163:164], v[88:89], -v[66:67]
	v_fma_f64 v[10:11], v[169:170], -0.5, v[10:11]
	v_add_f64 v[192:193], v[98:99], -v[62:63]
	v_add_f64 v[202:203], v[102:103], -v[100:101]
	;; [unrolled: 1-line block ×3, first 2 shown]
	v_add_f64 v[28:29], v[42:43], v[44:45]
	v_fma_f64 v[44:45], v[190:191], -0.5, v[12:13]
	v_add_f64 v[194:195], v[86:87], -v[70:71]
	v_fma_f64 v[12:13], v[200:201], -0.5, v[12:13]
	v_add_f64 v[206:207], v[0:1], v[90:91]
	v_add_f64 v[210:211], v[76:77], -v[64:65]
	v_add_f64 v[38:39], v[165:166], v[167:168]
	v_fma_f64 v[167:168], v[208:209], -0.5, v[0:1]
	v_add_f64 v[212:213], v[82:83], -v[72:73]
	v_fma_f64 v[0:1], v[218:219], -0.5, v[0:1]
	v_add_f64 v[2:3], v[2:3], v[136:137]
	v_add_f64 v[40:41], v[171:172], v[186:187]
	v_fma_f64 v[186:187], v[14:15], s[10:11], v[4:5]
	v_add_f64 v[42:43], v[188:189], v[102:103]
	v_fma_f64 v[4:5], v[14:15], s[14:15], v[4:5]
	v_fma_f64 v[188:189], v[16:17], s[14:15], v[6:7]
	;; [unrolled: 1-line block ×3, first 2 shown]
	v_add_f64 v[22:23], v[22:23], v[138:139]
	v_fma_f64 v[190:191], v[32:33], s[10:11], v[24:25]
	v_add_f64 v[30:31], v[46:47], v[122:123]
	v_add_f64 v[46:47], v[196:197], v[198:199]
	v_fma_f64 v[24:25], v[32:33], s[14:15], v[24:25]
	v_fma_f64 v[196:197], v[34:35], s[14:15], v[8:9]
	;; [unrolled: 1-line block ×7, first 2 shown]
	v_add_f64 v[112:113], v[202:203], v[204:205]
	v_fma_f64 v[202:203], v[192:193], s[10:11], v[44:45]
	v_fma_f64 v[204:205], v[194:195], s[14:15], v[12:13]
	;; [unrolled: 1-line block ×4, first 2 shown]
	v_add_f64 v[214:215], v[90:91], -v[92:93]
	v_add_f64 v[216:217], v[96:97], -v[94:95]
	v_add_f64 v[165:166], v[206:207], v[92:93]
	v_fma_f64 v[206:207], v[210:211], s[10:11], v[167:168]
	v_add_f64 v[220:221], v[92:93], -v[90:91]
	v_add_f64 v[222:223], v[94:95], -v[96:97]
	v_fma_f64 v[208:209], v[212:213], s[14:15], v[0:1]
	v_fma_f64 v[0:1], v[212:213], s[10:11], v[0:1]
	v_fma_f64 v[167:168], v[210:211], s[14:15], v[167:168]
	v_add_f64 v[2:3], v[2:3], v[144:145]
	v_fma_f64 v[186:187], v[16:17], s[6:7], v[186:187]
	v_fma_f64 v[4:5], v[16:17], s[12:13], v[4:5]
	v_fma_f64 v[16:17], v[14:15], s[6:7], v[188:189]
	v_fma_f64 v[6:7], v[14:15], s[12:13], v[6:7]
	v_add_f64 v[14:15], v[22:23], v[140:141]
	v_fma_f64 v[22:23], v[34:35], s[6:7], v[190:191]
	;; [unrolled: 5-line block ×4, first 2 shown]
	v_fma_f64 v[188:189], v[192:193], s[6:7], v[204:205]
	v_fma_f64 v[12:13], v[192:193], s[12:13], v[12:13]
	;; [unrolled: 1-line block ×3, first 2 shown]
	v_add_f64 v[169:170], v[214:215], v[216:217]
	v_add_f64 v[165:166], v[165:166], v[94:95]
	v_fma_f64 v[190:191], v[212:213], s[6:7], v[206:207]
	v_add_f64 v[171:172], v[220:221], v[222:223]
	v_fma_f64 v[192:193], v[210:211], s[6:7], v[208:209]
	v_fma_f64 v[0:1], v[210:211], s[12:13], v[0:1]
	;; [unrolled: 1-line block ×3, first 2 shown]
	v_add_f64 v[2:3], v[2:3], v[146:147]
	v_fma_f64 v[186:187], v[18:19], s[4:5], v[186:187]
	v_fma_f64 v[16:17], v[20:21], s[4:5], v[16:17]
	;; [unrolled: 1-line block ×8, first 2 shown]
	v_add_f64 v[30:31], v[30:31], v[130:131]
	v_fma_f64 v[24:25], v[38:39], s[4:5], v[32:33]
	v_fma_f64 v[28:29], v[40:41], s[4:5], v[163:164]
	v_fma_f64 v[10:11], v[40:41], s[4:5], v[10:11]
	v_fma_f64 v[26:27], v[38:39], s[4:5], v[36:37]
	v_add_f64 v[42:43], v[42:43], v[118:119]
	v_fma_f64 v[32:33], v[46:47], s[4:5], v[161:162]
	v_fma_f64 v[36:37], v[112:113], s[4:5], v[188:189]
	v_fma_f64 v[12:13], v[112:113], s[4:5], v[12:13]
	v_fma_f64 v[34:35], v[46:47], s[4:5], v[44:45]
	;; [unrolled: 5-line block ×3, first 2 shown]
	v_lshlrev_b32_sdwa v44, v250, v173 dst_sel:DWORD dst_unused:UNUSED_PAD src0_sel:DWORD src1_sel:WORD_0
	v_add3_u32 v163, 0, v251, v254
	v_add3_u32 v162, 0, v252, v255
	;; [unrolled: 1-line block ×3, first 2 shown]
	ds_write2_b64 v160, v[2:3], v[186:187] offset1:30
	ds_write2_b64 v160, v[16:17], v[6:7] offset0:60 offset1:90
	ds_write_b64 v160, v[4:5] offset:960
	ds_write2_b64 v159, v[14:15], v[18:19] offset1:30
	ds_write2_b64 v159, v[22:23], v[8:9] offset0:60 offset1:90
	ds_write_b64 v159, v[20:21] offset:960
	;; [unrolled: 3-line block ×5, first 2 shown]
	s_waitcnt lgkmcnt(0)
	s_barrier
	buffer_gl0_inv
	ds_read2_b64 v[12:15], v175 offset1:90
	ds_read2_b64 v[44:47], v157 offset0:110 offset1:200
	ds_read2_b64 v[40:43], v158 offset0:92 offset1:182
	;; [unrolled: 1-line block ×11, first 2 shown]
	v_lshl_add_u32 v148, v174, 3, 0
	s_and_saveexec_b32 s1, s0
	s_cbranch_execz .LBB0_27
; %bb.26:
	ds_read_b64 v[106:107], v175 offset:11760
	ds_read_b64 v[112:113], v148 offset:5760
	;; [unrolled: 1-line block ×3, first 2 shown]
.LBB0_27:
	s_or_b32 exec_lo, exec_lo, s1
	v_add_f64 v[149:150], v[84:85], v[74:75]
	v_add_f64 v[151:152], v[56:57], v[134:135]
	v_add_f64 v[142:143], v[142:143], -v[146:147]
	v_add_f64 v[153:154], v[134:135], v[68:69]
	v_add_f64 v[166:167], v[78:79], v[80:81]
	;; [unrolled: 1-line block ×3, first 2 shown]
	v_add_f64 v[124:125], v[124:125], -v[130:131]
	v_add_f64 v[136:137], v[136:137], -v[144:145]
	;; [unrolled: 1-line block ×4, first 2 shown]
	v_add_f64 v[164:165], v[58:59], v[128:129]
	v_add_f64 v[186:187], v[88:89], v[66:67]
	;; [unrolled: 1-line block ×3, first 2 shown]
	v_add_f64 v[132:133], v[132:133], -v[140:141]
	v_add_f64 v[120:121], v[120:121], -v[138:139]
	;; [unrolled: 1-line block ×4, first 2 shown]
	v_add_f64 v[194:195], v[86:87], v[70:71]
	v_add_f64 v[196:197], v[98:99], v[62:63]
	v_add_f64 v[134:135], v[84:85], -v[134:135]
	v_add_f64 v[155:156], v[74:75], -v[68:69]
	v_add_f64 v[198:199], v[82:83], v[72:73]
	v_fma_f64 v[130:131], v[149:150], -0.5, v[56:57]
	v_add_f64 v[84:85], v[151:152], v[84:85]
	v_add_f64 v[92:93], v[92:93], -v[94:95]
	v_fma_f64 v[56:57], v[153:154], -0.5, v[56:57]
	v_fma_f64 v[153:154], v[166:167], -0.5, v[58:59]
	;; [unrolled: 1-line block ×3, first 2 shown]
	v_add_f64 v[94:95], v[76:77], v[64:65]
	v_add_f64 v[128:129], v[78:79], -v[128:129]
	v_add_f64 v[172:173], v[52:53], v[116:117]
	v_add_f64 v[90:91], v[90:91], -v[96:97]
	v_add_f64 v[78:79], v[164:165], v[78:79]
	v_add_f64 v[96:97], v[144:145], v[146:147]
	v_fma_f64 v[144:145], v[186:187], -0.5, v[52:53]
	v_add_f64 v[122:123], v[122:123], -v[126:127]
	v_fma_f64 v[52:53], v[188:189], -0.5, v[52:53]
	v_add_f64 v[192:193], v[54:55], v[98:99]
	v_add_f64 v[100:101], v[100:101], -v[118:119]
	v_add_f64 v[166:167], v[48:49], v[76:77]
	v_add_f64 v[138:139], v[138:139], v[140:141]
	v_fma_f64 v[140:141], v[194:195], -0.5, v[54:55]
	v_add_f64 v[170:171], v[80:81], -v[50:51]
	v_add_f64 v[102:103], v[102:103], -v[114:115]
	v_fma_f64 v[168:169], v[142:143], s[14:15], v[130:131]
	v_fma_f64 v[130:131], v[142:143], s[10:11], v[130:131]
	v_fma_f64 v[54:55], v[196:197], -0.5, v[54:55]
	v_add_f64 v[134:135], v[134:135], v[155:156]
	v_fma_f64 v[146:147], v[198:199], -0.5, v[48:49]
	v_add_f64 v[74:75], v[84:85], v[74:75]
	v_fma_f64 v[84:85], v[136:137], s[10:11], v[56:57]
	v_fma_f64 v[155:156], v[132:133], s[14:15], v[153:154]
	;; [unrolled: 1-line block ×5, first 2 shown]
	v_fma_f64 v[48:49], v[94:95], -0.5, v[48:49]
	v_fma_f64 v[58:59], v[120:121], s[14:15], v[58:59]
	v_add_f64 v[126:127], v[116:117], -v[88:89]
	v_add_f64 v[149:150], v[60:61], -v[66:67]
	;; [unrolled: 1-line block ×3, first 2 shown]
	v_add_f64 v[88:89], v[172:173], v[88:89]
	v_add_f64 v[78:79], v[78:79], v[80:81]
	v_fma_f64 v[80:81], v[124:125], s[14:15], v[144:145]
	v_add_f64 v[190:191], v[66:67], -v[60:61]
	v_fma_f64 v[94:95], v[124:125], s[10:11], v[144:145]
	v_fma_f64 v[144:145], v[122:123], s[10:11], v[52:53]
	;; [unrolled: 1-line block ×5, first 2 shown]
	v_add_f64 v[114:115], v[98:99], -v[86:87]
	v_add_f64 v[118:119], v[62:63], -v[70:71]
	v_add_f64 v[98:99], v[86:87], -v[98:99]
	v_add_f64 v[86:87], v[192:193], v[86:87]
	v_add_f64 v[136:137], v[166:167], v[82:83]
	v_fma_f64 v[166:167], v[100:101], s[14:15], v[140:141]
	v_add_f64 v[151:152], v[70:71], -v[62:63]
	v_add_f64 v[128:129], v[128:129], v[170:171]
	v_fma_f64 v[170:171], v[102:103], s[10:11], v[54:55]
	v_fma_f64 v[54:55], v[102:103], s[14:15], v[54:55]
	;; [unrolled: 1-line block ×4, first 2 shown]
	v_add_f64 v[68:69], v[74:75], v[68:69]
	v_fma_f64 v[74:75], v[142:143], s[12:13], v[84:85]
	v_fma_f64 v[84:85], v[120:121], s[12:13], v[155:156]
	;; [unrolled: 1-line block ×3, first 2 shown]
	v_add_f64 v[155:156], v[64:65], -v[72:73]
	v_fma_f64 v[56:57], v[142:143], s[6:7], v[56:57]
	v_fma_f64 v[142:143], v[132:133], s[12:13], v[164:165]
	;; [unrolled: 1-line block ×4, first 2 shown]
	v_add_f64 v[130:131], v[76:77], -v[82:83]
	v_fma_f64 v[164:165], v[92:93], s[10:11], v[48:49]
	v_add_f64 v[76:77], v[82:83], -v[76:77]
	v_add_f64 v[82:83], v[72:73], -v[64:65]
	v_fma_f64 v[48:49], v[92:93], s[14:15], v[48:49]
	v_fma_f64 v[146:147], v[90:91], s[10:11], v[146:147]
	;; [unrolled: 1-line block ×3, first 2 shown]
	v_add_f64 v[66:67], v[88:89], v[66:67]
	v_fma_f64 v[80:81], v[122:123], s[12:13], v[80:81]
	v_add_f64 v[88:89], v[126:127], v[149:150]
	v_fma_f64 v[94:95], v[122:123], s[6:7], v[94:95]
	v_fma_f64 v[122:123], v[124:125], s[12:13], v[144:145]
	v_add_f64 v[116:117], v[116:117], v[190:191]
	v_fma_f64 v[52:53], v[124:125], s[6:7], v[52:53]
	v_add_f64 v[70:71], v[86:87], v[70:71]
	;; [unrolled: 2-line block ×4, first 2 shown]
	v_fma_f64 v[54:55], v[100:101], s[6:7], v[54:55]
	v_fma_f64 v[102:103], v[102:103], s[6:7], v[140:141]
	v_add_f64 v[72:73], v[136:137], v[72:73]
	v_fma_f64 v[100:101], v[92:93], s[12:13], v[172:173]
	v_add_f64 v[124:125], v[130:131], v[155:156]
	;; [unrolled: 2-line block ×3, first 2 shown]
	v_fma_f64 v[48:49], v[90:91], s[6:7], v[48:49]
	v_fma_f64 v[82:83], v[92:93], s[6:7], v[146:147]
	v_fma_f64 v[74:75], v[134:135], s[4:5], v[74:75]
	v_fma_f64 v[56:57], v[134:135], s[4:5], v[56:57]
	v_add_f64 v[50:51], v[78:79], v[50:51]
	v_fma_f64 v[78:79], v[138:139], s[4:5], v[84:85]
	v_fma_f64 v[90:91], v[128:129], s[4:5], v[142:143]
	v_fma_f64 v[58:59], v[128:129], s[4:5], v[58:59]
	v_fma_f64 v[84:85], v[138:139], s[4:5], v[120:121]
	v_add_f64 v[60:61], v[66:67], v[60:61]
	;; [unrolled: 5-line block ×4, first 2 shown]
	v_fma_f64 v[72:73], v[124:125], s[4:5], v[100:101]
	v_fma_f64 v[94:95], v[76:77], s[4:5], v[126:127]
	;; [unrolled: 1-line block ×4, first 2 shown]
	s_waitcnt lgkmcnt(0)
	s_barrier
	buffer_gl0_inv
	ds_write2_b64 v160, v[68:69], v[153:154] offset1:30
	ds_write2_b64 v160, v[74:75], v[56:57] offset0:60 offset1:90
	ds_write_b64 v160, v[96:97] offset:960
	ds_write2_b64 v159, v[50:51], v[78:79] offset1:30
	ds_write2_b64 v159, v[90:91], v[58:59] offset0:60 offset1:90
	ds_write_b64 v159, v[84:85] offset:960
	;; [unrolled: 3-line block ×5, first 2 shown]
	v_add_nc_u32_e32 v52, 0x1400, v175
	v_add_nc_u32_e32 v60, 0x2000, v175
	s_waitcnt lgkmcnt(0)
	s_barrier
	buffer_gl0_inv
	ds_read2_b64 v[48:51], v175 offset1:90
	ds_read2_b64 v[64:67], v52 offset0:110 offset1:200
	v_add_nc_u32_e32 v52, 0x400, v175
	v_add_nc_u32_e32 v61, 0x3800, v175
	;; [unrolled: 1-line block ×8, first 2 shown]
	ds_read2_b64 v[92:95], v158 offset0:92 offset1:182
	ds_read2_b64 v[56:59], v52 offset0:52 offset1:142
	;; [unrolled: 1-line block ×10, first 2 shown]
	s_and_saveexec_b32 s1, s0
	s_cbranch_execz .LBB0_29
; %bb.28:
	ds_read_b64 v[110:111], v175 offset:11760
	ds_read_b64 v[114:115], v148 offset:5760
	;; [unrolled: 1-line block ×3, first 2 shown]
.LBB0_29:
	s_or_b32 exec_lo, exec_lo, s1
	v_lshlrev_b32_e32 v116, 1, v174
	v_mov_b32_e32 v117, 0
	v_subrev_nc_u32_e32 v98, 60, v174
	v_cmp_gt_u32_e64 s1, 60, v174
	v_lshrrev_b16 v122, 1, v180
	v_mov_b32_e32 v129, 0xda75
	v_lshlrev_b64 v[96:97], 4, v[116:117]
	v_add_nc_u32_e32 v116, 60, v116
	v_cndmask_b32_e64 v128, v98, v181, s1
	v_mov_b32_e32 v98, v117
	v_mul_u32_u24_sdwa v122, v122, v129 dst_sel:DWORD dst_unused:UNUSED_PAD src0_sel:WORD_0 src1_sel:DWORD
	v_mov_b32_e32 v161, 5
	v_add_co_u32 v96, s1, s8, v96
	v_add_co_ci_u32_e64 v101, s1, s9, v97, s1
	v_lshlrev_b32_e32 v97, 1, v128
	v_add_co_u32 v99, s1, 0x800, v96
	v_add_co_ci_u32_e64 v100, s1, 0, v101, s1
	v_add_co_u32 v118, s1, 0x8c0, v96
	v_lshlrev_b64 v[120:121], 4, v[97:98]
	v_add_co_ci_u32_e64 v119, s1, 0, v101, s1
	s_clause 0x1
	global_load_dwordx4 v[100:103], v[99:100], off offset:192
	global_load_dwordx4 v[96:99], v[118:119], off offset:16
	v_add_co_u32 v118, s1, s8, v120
	v_add_co_ci_u32_e64 v119, s1, s9, v121, s1
	v_lshlrev_b64 v[116:117], 4, v[116:117]
	v_add_co_u32 v120, s1, 0x8c0, v118
	v_add_co_ci_u32_e64 v121, s1, 0, v119, s1
	v_add_co_u32 v118, s1, 0x800, v118
	v_lshrrev_b32_e32 v130, 22, v122
	v_add_co_ci_u32_e64 v119, s1, 0, v119, s1
	v_lshrrev_b16 v122, 1, v179
	v_add_co_u32 v116, s1, s8, v116
	v_add_co_ci_u32_e64 v117, s1, s9, v117, s1
	v_mul_lo_u16 v124, 0x96, v130
	v_mul_u32_u24_sdwa v125, v122, v129 dst_sel:DWORD dst_unused:UNUSED_PAD src0_sel:WORD_0 src1_sel:DWORD
	v_add_co_u32 v122, s1, 0x8c0, v116
	v_add_co_ci_u32_e64 v123, s1, 0, v117, s1
	v_sub_nc_u16 v147, v180, v124
	v_add_co_u32 v124, s1, 0x800, v116
	v_lshrrev_b32_e32 v126, 22, v125
	v_add_co_ci_u32_e64 v125, s1, 0, v117, s1
	s_clause 0x1
	global_load_dwordx4 v[116:119], v[118:119], off offset:192
	global_load_dwordx4 v[131:134], v[120:121], off offset:16
	v_lshlrev_b32_sdwa v120, v161, v147 dst_sel:DWORD dst_unused:UNUSED_PAD src0_sel:DWORD src1_sel:WORD_0
	s_clause 0x1
	global_load_dwordx4 v[135:138], v[124:125], off offset:192
	global_load_dwordx4 v[139:142], v[122:123], off offset:16
	v_lshrrev_b16 v122, 1, v185
	v_mul_lo_u16 v126, 0x96, v126
	v_add_co_u32 v123, s1, s8, v120
	v_add_co_ci_u32_e64 v124, null, s9, 0, s1
	v_mul_u32_u24_sdwa v122, v122, v129 dst_sel:DWORD dst_unused:UNUSED_PAD src0_sel:WORD_0 src1_sel:DWORD
	v_sub_nc_u16 v121, v179, v126
	v_add_co_u32 v120, s1, 0x8c0, v123
	v_lshrrev_b16 v144, 1, v184
	v_lshrrev_b32_e32 v126, 22, v122
	v_and_b32_e32 v173, 0xffff, v121
	v_add_co_ci_u32_e64 v121, s1, 0, v124, s1
	v_add_co_u32 v122, s1, 0x800, v123
	v_add_co_ci_u32_e64 v123, s1, 0, v124, s1
	v_mul_lo_u16 v124, 0x96, v126
	v_lshlrev_b32_e32 v125, 5, v173
	s_mov_b32 s4, 0xe8584caa
	s_mov_b32 s5, 0xbfebb67a
	;; [unrolled: 1-line block ×3, first 2 shown]
	v_sub_nc_u16 v143, v185, v124
	v_add_co_u32 v126, s1, s8, v125
	v_add_co_ci_u32_e64 v127, null, s9, 0, s1
	v_and_b32_e32 v203, 0xffff, v143
	v_mul_u32_u24_sdwa v143, v144, v129 dst_sel:DWORD dst_unused:UNUSED_PAD src0_sel:WORD_0 src1_sel:DWORD
	v_add_co_u32 v124, s1, 0x8c0, v126
	v_add_co_ci_u32_e64 v125, s1, 0, v127, s1
	v_add_co_u32 v126, s1, 0x800, v126
	v_lshrrev_b32_e32 v204, 22, v143
	s_clause 0x1
	global_load_dwordx4 v[143:146], v[122:123], off offset:192
	global_load_dwordx4 v[149:152], v[120:121], off offset:16
	v_lshlrev_b32_e32 v120, 5, v203
	v_lshrrev_b16 v122, 1, v183
	v_add_co_ci_u32_e64 v127, s1, 0, v127, s1
	s_clause 0x1
	global_load_dwordx4 v[153:156], v[126:127], off offset:192
	global_load_dwordx4 v[157:160], v[124:125], off offset:16
	v_add_co_u32 v123, s1, s8, v120
	v_mul_u32_u24_sdwa v122, v122, v129 dst_sel:DWORD dst_unused:UNUSED_PAD src0_sel:WORD_0 src1_sel:DWORD
	v_mul_lo_u16 v121, 0x96, v204
	v_add_co_ci_u32_e64 v124, null, s9, 0, s1
	v_add_co_u32 v120, s1, 0x8c0, v123
	v_lshrrev_b32_e32 v126, 22, v122
	v_sub_nc_u16 v205, v184, v121
	v_add_co_ci_u32_e64 v121, s1, 0, v124, s1
	v_add_co_u32 v122, s1, 0x800, v123
	v_add_co_ci_u32_e64 v123, s1, 0, v124, s1
	v_mul_lo_u16 v124, 0x96, v126
	v_lshrrev_b16 v126, 1, v182
	v_lshlrev_b32_sdwa v125, v161, v205 dst_sel:DWORD dst_unused:UNUSED_PAD src0_sel:DWORD src1_sel:WORD_0
	s_mov_b32 s6, s4
	v_sub_nc_u16 v162, v183, v124
	v_mul_u32_u24_sdwa v126, v126, v129 dst_sel:DWORD dst_unused:UNUSED_PAD src0_sel:WORD_0 src1_sel:DWORD
	v_add_co_u32 v127, s1, s8, v125
	v_add_co_ci_u32_e64 v161, null, s9, 0, s1
	v_lshrrev_b32_e32 v129, 22, v126
	v_add_co_u32 v124, s1, 0x8c0, v127
	v_and_b32_e32 v206, 0xffff, v162
	v_add_co_ci_u32_e64 v125, s1, 0, v161, s1
	v_mul_lo_u16 v129, 0x96, v129
	v_add_co_u32 v126, s1, 0x800, v127
	v_add_co_ci_u32_e64 v127, s1, 0, v161, s1
	s_clause 0x1
	global_load_dwordx4 v[161:164], v[122:123], off offset:192
	global_load_dwordx4 v[165:168], v[120:121], off offset:16
	v_lshlrev_b32_e32 v120, 5, v206
	v_sub_nc_u16 v121, v182, v129
	s_clause 0x1
	global_load_dwordx4 v[169:172], v[126:127], off offset:192
	global_load_dwordx4 v[183:186], v[124:125], off offset:16
	v_mul_u32_u24_e32 v126, 0xe10, v204
	v_lshl_add_u32 v127, v173, 3, 0
	v_add_co_u32 v122, s1, s8, v120
	v_and_b32_e32 v182, 0xffff, v121
	v_add_co_ci_u32_e64 v123, null, s9, 0, s1
	v_add_co_u32 v120, s1, 0x8c0, v122
	v_lshlrev_b32_e32 v124, 5, v182
	v_add_co_ci_u32_e64 v121, s1, 0, v123, s1
	v_add_co_u32 v122, s1, 0x800, v122
	v_add_co_ci_u32_e64 v123, s1, 0, v123, s1
	v_add_co_u32 v124, s1, s8, v124
	v_add_co_ci_u32_e64 v125, null, s9, 0, s1
	global_load_dwordx4 v[187:190], v[122:123], off offset:192
	v_add_co_u32 v122, s1, 0x800, v124
	v_add_co_ci_u32_e64 v123, s1, 0, v125, s1
	v_add_co_u32 v124, s1, 0x8c0, v124
	v_add_co_ci_u32_e64 v125, s1, 0, v125, s1
	s_clause 0x2
	global_load_dwordx4 v[191:194], v[120:121], off offset:16
	global_load_dwordx4 v[195:198], v[122:123], off offset:192
	;; [unrolled: 1-line block ×3, first 2 shown]
	v_mov_b32_e32 v120, 3
	v_cmp_lt_u32_e64 s1, 59, v174
	v_lshlrev_b32_e32 v122, 3, v128
	v_mul_u32_u24_e32 v124, 0xe10, v130
	v_add_nc_u32_e32 v123, 0xc00, v148
	v_lshlrev_b32_sdwa v125, v120, v147 dst_sel:DWORD dst_unused:UNUSED_PAD src0_sel:DWORD src1_sel:WORD_0
	v_cndmask_b32_e64 v121, 0, 0xe10, s1
	v_lshlrev_b32_sdwa v120, v120, v205 dst_sel:DWORD dst_unused:UNUSED_PAD src0_sel:DWORD src1_sel:WORD_0
	v_add_nc_u32_e32 v130, 0x1c00, v127
	s_waitcnt vmcnt(0) lgkmcnt(0)
	v_add3_u32 v128, 0, v124, v125
	v_add3_u32 v129, 0, v121, v122
	;; [unrolled: 1-line block ×3, first 2 shown]
	v_lshl_add_u32 v125, v203, 3, 0
	v_lshl_add_u32 v126, v206, 3, 0
	;; [unrolled: 1-line block ×3, first 2 shown]
	s_barrier
	buffer_gl0_inv
	v_mul_f64 v[120:121], v[64:65], v[102:103]
	v_mul_f64 v[102:103], v[44:45], v[102:103]
	;; [unrolled: 1-line block ×4, first 2 shown]
	v_fma_f64 v[44:45], v[44:45], v[100:101], v[120:121]
	v_fma_f64 v[100:101], v[64:65], v[100:101], -v[102:103]
	v_fma_f64 v[98:99], v[40:41], v[96:97], v[203:204]
	v_fma_f64 v[40:41], v[92:93], v[96:97], -v[205:206]
	v_mul_f64 v[211:212], v[66:67], v[118:119]
	v_mul_f64 v[118:119], v[46:47], v[118:119]
	;; [unrolled: 1-line block ×8, first 2 shown]
	v_fma_f64 v[102:103], v[46:47], v[116:117], v[211:212]
	v_fma_f64 v[118:119], v[66:67], v[116:117], -v[118:119]
	v_fma_f64 v[116:117], v[42:43], v[131:132], v[213:214]
	v_fma_f64 v[92:93], v[36:37], v[135:136], v[207:208]
	v_fma_f64 v[96:97], v[88:89], v[135:136], -v[137:138]
	v_fma_f64 v[88:89], v[32:33], v[139:140], v[209:210]
	v_fma_f64 v[32:33], v[84:85], v[139:140], -v[141:142]
	v_fma_f64 v[36:37], v[94:95], v[131:132], -v[133:134]
	v_add_f64 v[133:134], v[44:45], v[98:99]
	v_add_f64 v[131:132], v[12:13], v[44:45]
	v_add_f64 v[135:136], v[100:101], -v[40:41]
	v_mul_f64 v[215:216], v[90:91], v[145:146]
	v_mul_f64 v[145:146], v[38:39], v[145:146]
	;; [unrolled: 1-line block ×4, first 2 shown]
	v_add_f64 v[141:142], v[14:15], v[102:103]
	v_mul_f64 v[64:65], v[72:73], v[155:156]
	v_mul_f64 v[120:121], v[24:25], v[155:156]
	;; [unrolled: 1-line block ×4, first 2 shown]
	v_add_f64 v[139:140], v[96:97], -v[32:33]
	v_fma_f64 v[12:13], v[133:134], -0.5, v[12:13]
	v_add_f64 v[133:134], v[118:119], -v[36:37]
	v_fma_f64 v[38:39], v[38:39], v[143:144], v[215:216]
	v_fma_f64 v[94:95], v[90:91], v[143:144], -v[145:146]
	v_fma_f64 v[84:85], v[34:35], v[149:150], v[217:218]
	v_fma_f64 v[34:35], v[86:87], v[149:150], -v[151:152]
	;; [unrolled: 2-line block ×3, first 2 shown]
	v_fma_f64 v[90:91], v[28:29], v[157:158], v[155:156]
	v_add_f64 v[143:144], v[10:11], v[38:39]
	v_mul_f64 v[203:204], v[74:75], v[163:164]
	v_mul_f64 v[205:206], v[82:83], v[167:168]
	;; [unrolled: 1-line block ×8, first 2 shown]
	v_add_f64 v[149:150], v[4:5], v[86:87]
	v_fma_f64 v[42:43], v[26:27], v[161:162], v[203:204]
	v_fma_f64 v[46:47], v[30:31], v[165:166], v[205:206]
	v_fma_f64 v[26:27], v[80:81], v[157:158], -v[159:160]
	v_mul_f64 v[223:224], v[78:79], v[189:190]
	v_mul_f64 v[189:190], v[18:19], v[189:190]
	v_fma_f64 v[28:29], v[16:17], v[169:170], v[219:220]
	v_fma_f64 v[30:31], v[20:21], v[183:184], v[221:222]
	v_fma_f64 v[20:21], v[82:83], v[165:166], -v[167:168]
	v_add_f64 v[80:81], v[102:103], v[116:117]
	v_add_f64 v[82:83], v[86:87], v[90:91]
	v_fma_f64 v[74:75], v[74:75], v[161:162], -v[163:164]
	v_mul_f64 v[225:226], v[70:71], v[193:194]
	v_mul_f64 v[193:194], v[22:23], v[193:194]
	;; [unrolled: 1-line block ×6, first 2 shown]
	v_fma_f64 v[76:77], v[76:77], v[169:170], -v[171:172]
	v_fma_f64 v[16:17], v[68:69], v[183:184], -v[185:186]
	v_add_f64 v[151:152], v[6:7], v[42:43]
	v_fma_f64 v[24:25], v[18:19], v[187:188], v[223:224]
	v_fma_f64 v[72:73], v[78:79], v[187:188], -v[189:190]
	v_add_f64 v[78:79], v[92:93], v[88:89]
	v_add_f64 v[145:146], v[0:1], v[28:29]
	v_fma_f64 v[14:15], v[80:81], -0.5, v[14:15]
	v_add_f64 v[80:81], v[94:95], -v[34:35]
	v_fma_f64 v[4:5], v[82:83], -0.5, v[4:5]
	v_fma_f64 v[22:23], v[22:23], v[191:192], v[225:226]
	v_fma_f64 v[18:19], v[70:71], v[191:192], -v[193:194]
	v_add_f64 v[70:71], v[38:39], v[84:85]
	v_fma_f64 v[64:65], v[106:107], v[195:196], v[227:228]
	v_add_f64 v[106:107], v[42:43], v[46:47]
	v_fma_f64 v[68:69], v[104:105], v[199:200], v[229:230]
	v_add_f64 v[104:105], v[28:29], v[30:31]
	v_fma_f64 v[66:67], v[110:111], v[195:196], -v[197:198]
	v_add_f64 v[110:111], v[8:9], v[92:93]
	v_add_f64 v[82:83], v[74:75], -v[20:21]
	v_add_f64 v[153:154], v[2:3], v[24:25]
	v_fma_f64 v[8:9], v[78:79], -0.5, v[8:9]
	v_add_f64 v[78:79], v[76:77], -v[16:17]
	v_add_f64 v[137:138], v[24:25], v[22:23]
	v_fma_f64 v[10:11], v[70:71], -0.5, v[10:11]
	v_add_f64 v[70:71], v[120:121], -v[26:27]
	v_fma_f64 v[6:7], v[106:107], -0.5, v[6:7]
	v_add_f64 v[106:107], v[131:132], v[98:99]
	v_fma_f64 v[0:1], v[104:105], -0.5, v[0:1]
	v_add_f64 v[104:105], v[72:73], -v[18:19]
	v_add_f64 v[131:132], v[141:142], v[116:117]
	v_add_f64 v[141:142], v[145:146], v[30:31]
	;; [unrolled: 1-line block ×3, first 2 shown]
	v_fma_f64 v[151:152], v[133:134], s[4:5], v[14:15]
	v_fma_f64 v[14:15], v[133:134], s[6:7], v[14:15]
	v_add_f64 v[110:111], v[110:111], v[88:89]
	v_fma_f64 v[133:134], v[139:140], s[4:5], v[8:9]
	v_fma_f64 v[8:9], v[139:140], s[6:7], v[8:9]
	v_fma_f64 v[2:3], v[137:138], -0.5, v[2:3]
	v_add_f64 v[137:138], v[143:144], v[84:85]
	v_fma_f64 v[143:144], v[135:136], s[4:5], v[12:13]
	v_fma_f64 v[139:140], v[80:81], s[4:5], v[10:11]
	;; [unrolled: 1-line block ×5, first 2 shown]
	v_fma_f64 v[70:71], v[108:109], v[199:200], -v[201:202]
	v_fma_f64 v[12:13], v[135:136], s[6:7], v[12:13]
	v_add_f64 v[135:136], v[149:150], v[90:91]
	v_add_f64 v[149:150], v[153:154], v[22:23]
	v_fma_f64 v[153:154], v[82:83], s[4:5], v[6:7]
	v_fma_f64 v[6:7], v[82:83], s[6:7], v[6:7]
	;; [unrolled: 1-line block ×6, first 2 shown]
	v_add_nc_u32_e32 v104, 0x2800, v125
	v_add_nc_u32_e32 v105, 0x3800, v126
	ds_write2_b64 v175, v[106:107], v[143:144] offset1:150
	ds_write_b64 v175, v[12:13] offset:2400
	ds_write2_b64 v129, v[131:132], v[151:152] offset1:150
	ds_write_b64 v129, v[14:15] offset:2400
	ds_write2_b64 v123, v[110:111], v[133:134] offset0:96 offset1:246
	ds_write_b64 v148, v[8:9] offset:6240
	ds_write2_b64 v128, v[137:138], v[139:140] offset1:150
	ds_write_b64 v128, v[10:11] offset:2400
	ds_write2_b64 v130, v[135:136], v[80:81] offset0:4 offset1:154
	ds_write_b64 v127, v[4:5] offset:9600
	ds_write2_b64 v104, v[145:146], v[153:154] offset0:70 offset1:220
	ds_write_b64 v125, v[6:7] offset:13200
	ds_write2_b64 v124, v[141:142], v[82:83] offset1:150
	ds_write_b64 v124, v[0:1] offset:2400
	ds_write2_b64 v105, v[149:150], v[78:79] offset0:8 offset1:158
	ds_write_b64 v126, v[2:3] offset:16800
	s_and_saveexec_b32 s1, s0
	s_cbranch_execz .LBB0_31
; %bb.30:
	v_add_f64 v[0:1], v[64:65], v[68:69]
	v_add_f64 v[2:3], v[66:67], -v[70:71]
	v_add_f64 v[4:5], v[112:113], v[64:65]
	v_fma_f64 v[0:1], v[0:1], -0.5, v[112:113]
	v_add_f64 v[4:5], v[4:5], v[68:69]
	v_fma_f64 v[6:7], v[2:3], s[4:5], v[0:1]
	v_fma_f64 v[0:1], v[2:3], s[6:7], v[0:1]
	v_add_nc_u32_e32 v2, 0x3800, v122
	ds_write2_b64 v2, v[4:5], v[6:7] offset0:8 offset1:158
	ds_write_b64 v122, v[0:1] offset:16800
.LBB0_31:
	s_or_b32 exec_lo, exec_lo, s1
	v_add_f64 v[0:1], v[100:101], v[40:41]
	v_add_f64 v[2:3], v[118:119], v[36:37]
	;; [unrolled: 1-line block ×10, first 2 shown]
	v_add_f64 v[82:83], v[102:103], -v[116:117]
	v_add_f64 v[44:45], v[44:45], -v[98:99]
	;; [unrolled: 1-line block ×4, first 2 shown]
	v_add_f64 v[96:97], v[56:57], v[96:97]
	v_add_f64 v[98:99], v[52:53], v[120:121]
	v_add_f64 v[28:29], v[28:29], -v[30:31]
	v_add_f64 v[94:95], v[58:59], v[94:95]
	v_add_f64 v[46:47], v[60:61], v[76:77]
	;; [unrolled: 1-line block ×3, first 2 shown]
	v_add_f64 v[22:23], v[24:25], -v[22:23]
	s_waitcnt lgkmcnt(0)
	v_fma_f64 v[0:1], v[0:1], -0.5, v[48:49]
	v_add_f64 v[48:49], v[92:93], -v[88:89]
	v_fma_f64 v[2:3], v[2:3], -0.5, v[50:51]
	v_fma_f64 v[4:5], v[4:5], -0.5, v[56:57]
	v_add_f64 v[50:51], v[86:87], -v[90:91]
	v_fma_f64 v[8:9], v[8:9], -0.5, v[52:53]
	v_fma_f64 v[10:11], v[10:11], -0.5, v[54:55]
	;; [unrolled: 1-line block ×4, first 2 shown]
	v_add_f64 v[56:57], v[54:55], v[74:75]
	v_add_f64 v[52:53], v[12:13], v[40:41]
	v_fma_f64 v[12:13], v[80:81], -0.5, v[62:63]
	v_add_f64 v[54:55], v[78:79], v[36:37]
	s_barrier
	buffer_gl0_inv
	v_add_f64 v[58:59], v[96:97], v[32:33]
	v_add_f64 v[62:63], v[98:99], v[26:27]
	;; [unrolled: 1-line block ×5, first 2 shown]
	v_add_nc_u32_e32 v32, 0x2000, v175
	v_add_nc_u32_e32 v33, 0x3c00, v175
	v_fma_f64 v[72:73], v[44:45], s[6:7], v[0:1]
	v_fma_f64 v[76:77], v[44:45], s[4:5], v[0:1]
	;; [unrolled: 1-line block ×6, first 2 shown]
	v_add_nc_u32_e32 v4, 0x800, v175
	v_fma_f64 v[88:89], v[50:51], s[6:7], v[8:9]
	v_fma_f64 v[50:51], v[50:51], s[4:5], v[8:9]
	v_fma_f64 v[90:91], v[42:43], s[6:7], v[10:11]
	v_fma_f64 v[92:93], v[42:43], s[4:5], v[10:11]
	ds_read2_b64 v[0:3], v175 offset1:90
	ds_read2_b64 v[8:11], v4 offset0:104 offset1:194
	v_add_nc_u32_e32 v4, 0x1800, v175
	v_add_nc_u32_e32 v5, 0x2400, v175
	v_fma_f64 v[84:85], v[38:39], s[6:7], v[6:7]
	v_fma_f64 v[86:87], v[38:39], s[4:5], v[6:7]
	v_add_nc_u32_e32 v6, 0x3800, v175
	v_add_nc_u32_e32 v7, 0x1000, v175
	v_fma_f64 v[96:97], v[28:29], s[6:7], v[14:15]
	v_fma_f64 v[98:99], v[28:29], s[4:5], v[14:15]
	v_add_nc_u32_e32 v28, 0x2800, v175
	v_add_f64 v[56:57], v[56:57], v[20:21]
	v_fma_f64 v[102:103], v[22:23], s[6:7], v[12:13]
	v_fma_f64 v[104:105], v[22:23], s[4:5], v[12:13]
	ds_read2_b64 v[16:19], v4 offset0:132 offset1:222
	ds_read2_b64 v[20:23], v5 offset0:108 offset1:198
	;; [unrolled: 1-line block ×5, first 2 shown]
	v_add_nc_u32_e32 v4, 0x400, v175
	v_add_nc_u32_e32 v40, 0x1400, v175
	;; [unrolled: 1-line block ×3, first 2 shown]
	ds_read2_b64 v[4:7], v4 offset0:52 offset1:142
	ds_read2_b64 v[36:39], v32 offset0:56 offset1:146
	;; [unrolled: 1-line block ×5, first 2 shown]
	ds_read_b64 v[74:75], v175 offset:17280
	s_waitcnt lgkmcnt(0)
	s_barrier
	buffer_gl0_inv
	ds_write2_b64 v175, v[52:53], v[72:73] offset1:150
	ds_write_b64 v175, v[76:77] offset:2400
	ds_write2_b64 v129, v[54:55], v[78:79] offset1:150
	ds_write_b64 v129, v[80:81] offset:2400
	ds_write2_b64 v123, v[58:59], v[82:83] offset0:96 offset1:246
	ds_write_b64 v148, v[48:49] offset:6240
	ds_write2_b64 v128, v[60:61], v[84:85] offset1:150
	v_add_nc_u32_e32 v48, 0x2800, v125
	v_add_nc_u32_e32 v49, 0x3800, v126
	ds_write_b64 v128, v[86:87] offset:2400
	ds_write2_b64 v130, v[62:63], v[88:89] offset0:4 offset1:154
	ds_write_b64 v127, v[50:51] offset:9600
	ds_write2_b64 v48, v[56:57], v[90:91] offset0:70 offset1:220
	ds_write_b64 v125, v[92:93] offset:13200
	ds_write2_b64 v124, v[94:95], v[96:97] offset1:150
	ds_write_b64 v124, v[98:99] offset:2400
	ds_write2_b64 v49, v[100:101], v[102:103] offset0:8 offset1:158
	ds_write_b64 v126, v[104:105] offset:16800
	s_and_saveexec_b32 s1, s0
	s_cbranch_execz .LBB0_33
; %bb.32:
	v_add_f64 v[48:49], v[66:67], v[70:71]
	v_add_f64 v[50:51], v[64:65], -v[68:69]
	v_add_f64 v[52:53], v[114:115], v[66:67]
	s_mov_b32 s5, 0x3febb67a
	s_mov_b32 s4, 0xe8584caa
	v_fma_f64 v[48:49], v[48:49], -0.5, v[114:115]
	v_add_f64 v[52:53], v[52:53], v[70:71]
	v_fma_f64 v[54:55], v[50:51], s[4:5], v[48:49]
	s_mov_b32 s5, 0xbfebb67a
	v_fma_f64 v[48:49], v[50:51], s[4:5], v[48:49]
	v_add_nc_u32_e32 v50, 0x3800, v122
	ds_write2_b64 v50, v[52:53], v[54:55] offset0:8 offset1:158
	ds_write_b64 v122, v[48:49] offset:16800
.LBB0_33:
	s_or_b32 exec_lo, exec_lo, s1
	s_waitcnt lgkmcnt(0)
	s_barrier
	buffer_gl0_inv
	s_and_saveexec_b32 s0, vcc_lo
	s_cbranch_execz .LBB0_35
; %bb.34:
	v_lshlrev_b32_e32 v72, 2, v179
	v_mov_b32_e32 v73, 0
	v_add_nc_u32_e32 v142, 0x1400, v175
	v_add_nc_u32_e32 v150, 0x800, v175
	;; [unrolled: 1-line block ×4, first 2 shown]
	v_lshlrev_b64 v[48:49], 4, v[72:73]
	v_lshlrev_b32_e32 v72, 2, v180
	v_add_nc_u32_e32 v158, 0x3c00, v175
	v_add_nc_u32_e32 v162, 0x400, v175
	;; [unrolled: 1-line block ×4, first 2 shown]
	v_add_co_u32 v50, vcc_lo, s8, v48
	v_add_co_ci_u32_e32 v51, vcc_lo, s9, v49, vcc_lo
	v_lshlrev_b64 v[64:65], 4, v[72:73]
	v_add_co_u32 v48, vcc_lo, 0x1800, v50
	v_add_co_ci_u32_e32 v49, vcc_lo, 0, v51, vcc_lo
	v_add_co_u32 v56, vcc_lo, 0x1b80, v50
	v_add_co_ci_u32_e32 v57, vcc_lo, 0, v51, vcc_lo
	v_add_co_u32 v66, vcc_lo, s8, v64
	v_lshlrev_b32_e32 v72, 2, v178
	v_add_co_ci_u32_e32 v67, vcc_lo, s9, v65, vcc_lo
	v_add_co_u32 v76, vcc_lo, 0x1b80, v66
	v_lshlrev_b64 v[64:65], 4, v[72:73]
	v_add_co_ci_u32_e32 v77, vcc_lo, 0, v67, vcc_lo
	v_add_co_u32 v66, vcc_lo, 0x1800, v66
	v_add_co_ci_u32_e32 v67, vcc_lo, 0, v67, vcc_lo
	v_add_co_u32 v78, vcc_lo, s8, v64
	v_add_co_ci_u32_e32 v79, vcc_lo, s9, v65, vcc_lo
	v_lshlrev_b32_e32 v72, 2, v181
	v_add_co_u32 v86, vcc_lo, 0x1800, v78
	v_add_co_ci_u32_e32 v87, vcc_lo, 0, v79, vcc_lo
	v_add_co_u32 v98, vcc_lo, 0x1b80, v78
	s_clause 0x5
	global_load_dwordx4 v[48:51], v[48:49], off offset:896
	global_load_dwordx4 v[60:63], v[56:57], off offset:48
	;; [unrolled: 1-line block ×6, first 2 shown]
	v_add_co_ci_u32_e32 v99, vcc_lo, 0, v79, vcc_lo
	s_clause 0x1
	global_load_dwordx4 v[78:81], v[76:77], off offset:32
	global_load_dwordx4 v[82:85], v[76:77], off offset:16
	v_lshlrev_b64 v[76:77], 4, v[72:73]
	v_lshlrev_b32_e32 v72, 2, v174
	s_clause 0x3
	global_load_dwordx4 v[86:89], v[86:87], off offset:896
	global_load_dwordx4 v[90:93], v[98:99], off offset:48
	;; [unrolled: 1-line block ×4, first 2 shown]
	v_add_nc_u32_e32 v181, 0x1800, v175
	v_add_nc_u32_e32 v182, 0x3800, v175
	s_mov_b32 s11, 0xbfee6f0e
	v_add_co_u32 v102, vcc_lo, s8, v76
	v_add_co_ci_u32_e32 v103, vcc_lo, s9, v77, vcc_lo
	v_lshlrev_b64 v[110:111], 4, v[72:73]
	v_add_co_u32 v76, vcc_lo, 0x1b80, v102
	v_add_co_ci_u32_e32 v77, vcc_lo, 0, v103, vcc_lo
	v_add_co_u32 v112, vcc_lo, 0x1800, v102
	v_add_co_ci_u32_e32 v113, vcc_lo, 0, v103, vcc_lo
	;; [unrolled: 2-line block ×3, first 2 shown]
	s_clause 0x3
	global_load_dwordx4 v[102:105], v[76:77], off offset:32
	global_load_dwordx4 v[106:109], v[76:77], off offset:16
	;; [unrolled: 1-line block ×4, first 2 shown]
	v_add_co_u32 v76, vcc_lo, 0x1b80, v72
	v_add_co_ci_u32_e32 v77, vcc_lo, 0, v118, vcc_lo
	v_add_co_u32 v122, vcc_lo, 0x1800, v72
	v_add_co_ci_u32_e32 v123, vcc_lo, 0, v118, vcc_lo
	s_clause 0x3
	global_load_dwordx4 v[118:121], v[76:77], off offset:16
	global_load_dwordx4 v[122:125], v[122:123], off offset:896
	;; [unrolled: 1-line block ×4, first 2 shown]
	v_add_nc_u32_e32 v72, 0x2400, v175
	ds_read_b64 v[185:186], v175 offset:17280
	ds_read2_b64 v[134:137], v175 offset1:90
	ds_read2_b64 v[138:141], v72 offset0:108 offset1:198
	ds_read2_b64 v[142:145], v142 offset0:80 offset1:170
	;; [unrolled: 1-line block ×7, first 2 shown]
	v_mov_b32_e32 v175, v73
	v_add_co_u32 v76, vcc_lo, s2, v176
	v_add_co_ci_u32_e32 v77, vcc_lo, s3, v177, vcc_lo
	v_lshlrev_b64 v[187:188], 4, v[174:175]
	ds_read2_b64 v[166:169], v166 offset0:28 offset1:118
	ds_read2_b64 v[170:173], v170 offset0:160 offset1:250
	;; [unrolled: 1-line block ×4, first 2 shown]
	s_mov_b32 s8, 0x134454ff
	s_mov_b32 s9, 0x3fee6f0e
	;; [unrolled: 1-line block ×9, first 2 shown]
	v_mul_hi_u32 v189, 0x91a2b3c5, v178
	v_add_co_u32 v187, vcc_lo, v76, v187
	v_add_co_ci_u32_e32 v188, vcc_lo, v77, v188, vcc_lo
	v_lshrrev_b32_e32 v72, 8, v189
	v_add_co_u32 v189, vcc_lo, 0x1800, v187
	v_add_co_ci_u32_e32 v190, vcc_lo, 0, v188, vcc_lo
	v_add_co_u32 v191, vcc_lo, 0x3800, v187
	v_add_co_ci_u32_e32 v192, vcc_lo, 0, v188, vcc_lo
	v_add_co_u32 v193, vcc_lo, 0x5000, v187
	v_mad_u32_u24 v72, 0x708, v72, v178
	v_add_co_ci_u32_e32 v194, vcc_lo, 0, v188, vcc_lo
	v_add_co_u32 v195, vcc_lo, 0x7000, v187
	v_add_co_ci_u32_e32 v196, vcc_lo, 0, v188, vcc_lo
	s_waitcnt vmcnt(19)
	v_mul_f64 v[199:200], v[42:43], v[50:51]
	s_waitcnt vmcnt(18)
	v_mul_f64 v[203:204], v[74:75], v[62:63]
	;; [unrolled: 2-line block ×4, first 2 shown]
	s_waitcnt lgkmcnt(10)
	v_mul_f64 v[58:59], v[138:139], v[58:59]
	s_waitcnt lgkmcnt(8)
	v_mul_f64 v[54:55], v[148:149], v[54:55]
	v_mul_f64 v[50:51], v[144:145], v[50:51]
	;; [unrolled: 1-line block ×3, first 2 shown]
	s_waitcnt vmcnt(12)
	v_mul_f64 v[205:206], v[38:39], v[84:85]
	v_mul_f64 v[207:208], v[40:41], v[66:67]
	v_mul_f64 v[209:210], v[44:45], v[80:81]
	v_mul_f64 v[211:212], v[34:35], v[70:71]
	s_waitcnt lgkmcnt(6)
	v_mul_f64 v[84:85], v[156:157], v[84:85]
	v_mul_f64 v[80:81], v[146:147], v[80:81]
	;; [unrolled: 1-line block ×3, first 2 shown]
	s_waitcnt lgkmcnt(5)
	v_mul_f64 v[70:71], v[160:161], v[70:71]
	s_waitcnt vmcnt(8)
	v_mul_f64 v[213:214], v[36:37], v[100:101]
	v_mul_f64 v[215:216], v[26:27], v[88:89]
	v_mul_f64 v[217:218], v[30:31], v[96:97]
	v_mul_f64 v[219:220], v[32:33], v[92:93]
	v_mul_f64 v[100:101], v[154:155], v[100:101]
	s_waitcnt lgkmcnt(2)
	v_mul_f64 v[96:97], v[172:173], v[96:97]
	v_mul_f64 v[88:89], v[168:169], v[88:89]
	;; [unrolled: 1-line block ×3, first 2 shown]
	v_fma_f64 v[185:186], v[60:61], v[185:186], -v[203:204]
	v_fma_f64 v[20:21], v[20:21], v[56:57], v[58:59]
	v_fma_f64 v[46:47], v[46:47], v[52:53], v[54:55]
	;; [unrolled: 1-line block ×4, first 2 shown]
	s_waitcnt vmcnt(7)
	v_mul_f64 v[225:226], v[28:29], v[104:105]
	s_waitcnt vmcnt(6)
	v_mul_f64 v[221:222], v[18:19], v[108:109]
	;; [unrolled: 2-line block ×4, first 2 shown]
	s_waitcnt lgkmcnt(1)
	v_mul_f64 v[62:63], v[176:177], v[108:109]
	v_mul_f64 v[74:75], v[170:171], v[104:105]
	;; [unrolled: 1-line block ×3, first 2 shown]
	v_fma_f64 v[108:109], v[56:57], v[138:139], -v[197:198]
	s_waitcnt lgkmcnt(0)
	v_mul_f64 v[56:57], v[183:184], v[116:117]
	v_fma_f64 v[112:113], v[52:53], v[148:149], -v[201:202]
	s_waitcnt vmcnt(3)
	v_mul_f64 v[58:59], v[16:17], v[120:121]
	s_waitcnt vmcnt(2)
	v_mul_f64 v[52:53], v[10:11], v[124:125]
	;; [unrolled: 2-line block ×3, first 2 shown]
	v_fma_f64 v[116:117], v[48:49], v[144:145], -v[199:200]
	s_waitcnt vmcnt(0)
	v_mul_f64 v[48:49], v[12:13], v[132:133]
	v_mul_f64 v[50:51], v[174:175], v[120:121]
	v_fma_f64 v[120:121], v[64:65], v[142:143], -v[207:208]
	v_mul_f64 v[128:129], v[140:141], v[128:129]
	v_mul_f64 v[124:125], v[152:153], v[124:125]
	v_fma_f64 v[138:139], v[78:79], v[146:147], -v[209:210]
	v_mul_f64 v[132:133], v[181:182], v[132:133]
	v_fma_f64 v[142:143], v[82:83], v[156:157], -v[205:206]
	v_fma_f64 v[144:145], v[68:69], v[160:161], -v[211:212]
	v_fma_f64 v[38:39], v[38:39], v[82:83], v[84:85]
	v_fma_f64 v[44:45], v[44:45], v[78:79], v[80:81]
	v_fma_f64 v[40:41], v[40:41], v[64:65], v[66:67]
	v_fma_f64 v[34:35], v[34:35], v[68:69], v[70:71]
	v_fma_f64 v[64:65], v[98:99], v[154:155], -v[213:214]
	v_fma_f64 v[66:67], v[86:87], v[168:169], -v[215:216]
	v_fma_f64 v[68:69], v[94:95], v[172:173], -v[217:218]
	v_fma_f64 v[70:71], v[90:91], v[158:159], -v[219:220]
	v_fma_f64 v[36:37], v[36:37], v[98:99], v[100:101]
	v_fma_f64 v[30:31], v[30:31], v[94:95], v[96:97]
	v_fma_f64 v[26:27], v[26:27], v[86:87], v[88:89]
	v_fma_f64 v[32:33], v[32:33], v[90:91], v[92:93]
	v_fma_f64 v[78:79], v[106:107], v[176:177], -v[221:222]
	v_fma_f64 v[80:81], v[110:111], v[166:167], -v[223:224]
	;; [unrolled: 8-line block ×3, first 2 shown]
	v_fma_f64 v[54:55], v[126:127], v[140:141], -v[54:55]
	v_fma_f64 v[48:49], v[130:131], v[181:182], -v[48:49]
	v_fma_f64 v[16:17], v[16:17], v[118:119], v[50:51]
	v_fma_f64 v[22:23], v[22:23], v[126:127], v[128:129]
	;; [unrolled: 1-line block ×4, first 2 shown]
	v_add_f64 v[12:13], v[108:109], -v[116:117]
	v_add_f64 v[58:59], v[112:113], -v[185:186]
	v_add_f64 v[74:75], v[116:117], v[185:186]
	v_add_f64 v[86:87], v[42:43], -v[60:61]
	v_add_f64 v[88:89], v[116:117], -v[108:109]
	v_add_f64 v[90:91], v[185:186], -v[112:113]
	v_add_f64 v[94:95], v[116:117], v[150:151]
	v_add_f64 v[96:97], v[20:21], -v[42:43]
	;; [unrolled: 4-line block ×3, first 2 shown]
	v_add_f64 v[110:111], v[60:61], -v[46:47]
	v_add_f64 v[114:115], v[20:21], v[46:47]
	v_add_f64 v[42:43], v[8:9], v[42:43]
	v_add_f64 v[116:117], v[142:143], -v[120:121]
	v_add_f64 v[118:119], v[138:139], -v[144:145]
	;; [unrolled: 1-line block ×4, first 2 shown]
	v_add_f64 v[140:141], v[120:121], v[164:165]
	v_add_f64 v[62:63], v[20:21], -v[46:47]
	v_add_f64 v[92:93], v[108:109], v[112:113]
	v_add_f64 v[104:105], v[108:109], -v[112:113]
	v_add_f64 v[126:127], v[40:41], -v[34:35]
	;; [unrolled: 1-line block ×5, first 2 shown]
	v_add_f64 v[152:153], v[40:41], v[34:35]
	v_add_f64 v[160:161], v[38:39], v[44:45]
	;; [unrolled: 1-line block ×3, first 2 shown]
	v_add_f64 v[166:167], v[64:65], -v[66:67]
	v_add_f64 v[168:169], v[68:69], -v[70:71]
	v_add_f64 v[172:173], v[66:67], v[70:71]
	v_add_f64 v[183:184], v[64:65], v[68:69]
	;; [unrolled: 1-line block ×4, first 2 shown]
	v_add_f64 v[221:222], v[24:25], -v[56:57]
	v_add_f64 v[229:230], v[80:81], v[136:137]
	v_add_f64 v[231:232], v[18:19], -v[24:25]
	v_add_f64 v[235:236], v[24:25], v[56:57]
	;; [unrolled: 2-line block ×3, first 2 shown]
	v_fma_f64 v[102:103], v[102:103], -0.5, v[8:9]
	v_fma_f64 v[8:9], v[114:115], -0.5, v[8:9]
	v_add_f64 v[114:115], v[52:53], v[48:49]
	v_add_f64 v[58:59], v[12:13], v[58:59]
	v_add_f64 v[12:13], v[52:53], -v[14:15]
	v_add_f64 v[88:89], v[88:89], v[90:91]
	v_add_f64 v[90:91], v[48:49], -v[54:55]
	v_add_f64 v[94:95], v[108:109], v[94:95]
	v_add_f64 v[108:109], v[14:15], v[54:55]
	;; [unrolled: 1-line block ×5, first 2 shown]
	v_add_f64 v[110:111], v[16:17], -v[10:11]
	v_add_f64 v[20:21], v[20:21], v[42:43]
	v_add_f64 v[42:43], v[22:23], -v[50:51]
	v_add_f64 v[116:117], v[116:117], v[118:119]
	v_add_f64 v[118:119], v[10:11], v[50:51]
	;; [unrolled: 1-line block ×5, first 2 shown]
	v_add_f64 v[148:149], v[44:45], -v[34:35]
	v_add_f64 v[132:133], v[142:143], v[138:139]
	v_add_f64 v[174:175], v[26:27], -v[32:33]
	v_add_f64 v[199:200], v[36:37], -v[26:27]
	;; [unrolled: 1-line block ×3, first 2 shown]
	v_add_f64 v[26:27], v[4:5], v[26:27]
	v_add_f64 v[219:220], v[80:81], v[84:85]
	;; [unrolled: 1-line block ×4, first 2 shown]
	v_add_f64 v[154:155], v[142:143], -v[138:139]
	v_add_f64 v[249:250], v[10:11], -v[50:51]
	v_add_f64 v[140:141], v[142:143], v[140:141]
	v_add_f64 v[142:143], v[10:11], -v[16:17]
	v_add_f64 v[10:11], v[0:1], v[10:11]
	v_add_f64 v[122:123], v[38:39], -v[44:45]
	v_add_f64 v[176:177], v[66:67], -v[64:65]
	;; [unrolled: 1-line block ×4, first 2 shown]
	v_add_f64 v[211:212], v[36:37], v[30:31]
	v_add_f64 v[213:214], v[78:79], -v[80:81]
	v_add_f64 v[215:216], v[82:83], -v[84:85]
	v_add_f64 v[217:218], v[18:19], -v[28:29]
	v_add_f64 v[223:224], v[80:81], -v[78:79]
	v_add_f64 v[225:226], v[84:85], -v[82:83]
	v_add_f64 v[237:238], v[78:79], -v[82:83]
	v_add_f64 v[245:246], v[14:15], -v[52:53]
	v_fma_f64 v[74:75], v[74:75], -0.5, v[150:151]
	v_fma_f64 v[92:93], v[92:93], -0.5, v[150:151]
	v_add_f64 v[247:248], v[16:17], -v[22:23]
	v_add_f64 v[52:53], v[52:53], -v[48:49]
	v_add_f64 v[128:129], v[128:129], v[130:131]
	v_add_f64 v[130:131], v[14:15], -v[54:55]
	v_fma_f64 v[152:153], v[152:153], -0.5, v[6:7]
	v_fma_f64 v[6:7], v[160:161], -0.5, v[6:7]
	v_add_f64 v[38:39], v[38:39], v[40:41]
	v_add_f64 v[160:161], v[166:167], v[168:169]
	v_fma_f64 v[40:41], v[172:173], -0.5, v[162:163]
	v_fma_f64 v[162:163], v[183:184], -0.5, v[162:163]
	v_add_f64 v[64:65], v[64:65], v[197:198]
	v_fma_f64 v[168:169], v[203:204], -0.5, v[4:5]
	v_add_f64 v[78:79], v[78:79], v[229:230]
	v_add_f64 v[18:19], v[18:19], v[24:25]
	v_fma_f64 v[24:25], v[114:115], -0.5, v[134:135]
	v_add_f64 v[90:91], v[12:13], v[90:91]
	v_fma_f64 v[12:13], v[108:109], -0.5, v[134:135]
	v_add_f64 v[14:15], v[14:15], v[98:99]
	v_add_f64 v[98:99], v[110:111], v[42:43]
	v_fma_f64 v[42:43], v[118:119], -0.5, v[0:1]
	v_fma_f64 v[0:1], v[158:159], -0.5, v[0:1]
	v_add_f64 v[120:121], v[120:121], -v[144:145]
	v_add_f64 v[146:147], v[146:147], v[148:149]
	v_add_f64 v[148:149], v[50:51], -v[22:23]
	v_fma_f64 v[124:125], v[124:125], -0.5, v[164:165]
	v_fma_f64 v[197:198], v[235:236], -0.5, v[2:3]
	v_add_f64 v[170:171], v[36:37], -v[30:31]
	v_add_f64 v[209:210], v[32:33], -v[30:31]
	;; [unrolled: 1-line block ×3, first 2 shown]
	v_fma_f64 v[132:133], v[132:133], -0.5, v[164:165]
	v_add_f64 v[26:27], v[36:37], v[26:27]
	v_fma_f64 v[36:37], v[219:220], -0.5, v[136:137]
	v_fma_f64 v[136:137], v[227:228], -0.5, v[136:137]
	v_fma_f64 v[2:3], v[243:244], -0.5, v[2:3]
	v_add_f64 v[10:11], v[16:17], v[10:11]
	v_add_f64 v[201:202], v[30:31], -v[32:33]
	v_add_f64 v[66:67], v[66:67], -v[70:71]
	;; [unrolled: 1-line block ×5, first 2 shown]
	v_add_f64 v[164:165], v[176:177], v[181:182]
	v_fma_f64 v[4:5], v[211:212], -0.5, v[4:5]
	v_add_f64 v[176:177], v[213:214], v[215:216]
	v_add_f64 v[181:182], v[223:224], v[225:226]
	v_fma_f64 v[16:17], v[62:63], s[8:9], v[74:75]
	v_fma_f64 v[74:75], v[62:63], s[10:11], v[74:75]
	;; [unrolled: 1-line block ×4, first 2 shown]
	v_add_f64 v[134:135], v[138:139], v[140:141]
	v_fma_f64 v[138:139], v[154:155], s[10:11], v[152:153]
	v_fma_f64 v[140:141], v[154:155], s[8:9], v[152:153]
	;; [unrolled: 1-line block ×4, first 2 shown]
	v_add_f64 v[64:65], v[68:69], v[64:65]
	v_fma_f64 v[68:69], v[205:206], s[10:11], v[168:169]
	v_fma_f64 v[162:163], v[205:206], s[8:9], v[168:169]
	v_add_f64 v[78:79], v[82:83], v[78:79]
	v_add_f64 v[18:19], v[18:19], v[28:29]
	v_fma_f64 v[28:29], v[247:248], s[8:9], v[24:25]
	v_fma_f64 v[24:25], v[247:248], s[10:11], v[24:25]
	v_fma_f64 v[211:212], v[249:250], s[10:11], v[12:13]
	v_fma_f64 v[213:214], v[249:250], s[8:9], v[12:13]
	v_fma_f64 v[223:224], v[52:53], s[10:11], v[0:1]
	v_add_f64 v[54:55], v[54:55], v[14:15]
	v_fma_f64 v[215:216], v[130:131], s[10:11], v[42:43]
	v_fma_f64 v[42:43], v[130:131], s[8:9], v[42:43]
	v_add_f64 v[108:109], v[142:143], v[148:149]
	v_add_f64 v[94:95], v[112:113], v[94:95]
	v_fma_f64 v[112:113], v[104:105], s[10:11], v[102:103]
	v_fma_f64 v[102:103], v[104:105], s[8:9], v[102:103]
	;; [unrolled: 1-line block ×3, first 2 shown]
	v_add_f64 v[20:21], v[20:21], v[46:47]
	v_fma_f64 v[46:47], v[122:123], s[8:9], v[124:125]
	v_fma_f64 v[118:119], v[122:123], s[10:11], v[124:125]
	;; [unrolled: 1-line block ×7, first 2 shown]
	v_add_f64 v[172:173], v[207:208], v[209:210]
	v_fma_f64 v[8:9], v[100:101], s[10:11], v[8:9]
	v_fma_f64 v[124:125], v[126:127], s[10:11], v[132:133]
	;; [unrolled: 1-line block ×5, first 2 shown]
	v_add_f64 v[26:27], v[26:27], v[30:31]
	v_fma_f64 v[30:31], v[217:218], s[8:9], v[36:37]
	v_fma_f64 v[36:37], v[217:218], s[10:11], v[36:37]
	v_fma_f64 v[132:133], v[126:127], s[8:9], v[132:133]
	v_fma_f64 v[207:208], v[80:81], s[8:9], v[2:3]
	v_add_f64 v[22:23], v[10:11], v[22:23]
	v_add_f64 v[166:167], v[199:200], v[201:202]
	;; [unrolled: 1-line block ×4, first 2 shown]
	v_fma_f64 v[168:169], v[66:67], s[8:9], v[4:5]
	v_fma_f64 v[201:202], v[66:67], s[10:11], v[4:5]
	;; [unrolled: 1-line block ×6, first 2 shown]
	v_add_f64 v[6:7], v[144:145], v[134:135]
	v_add_f64 v[10:11], v[70:71], v[64:65]
	v_fma_f64 v[68:69], v[66:67], s[6:7], v[68:69]
	v_fma_f64 v[134:135], v[66:67], s[4:5], v[162:163]
	v_add_f64 v[14:15], v[84:85], v[78:79]
	v_fma_f64 v[64:65], v[249:250], s[6:7], v[24:25]
	v_fma_f64 v[66:67], v[247:248], s[4:5], v[211:212]
	v_fma_f64 v[70:71], v[247:248], s[6:7], v[213:214]
	v_fma_f64 v[78:79], v[130:131], s[4:5], v[223:224]
	v_add_f64 v[12:13], v[18:19], v[56:57]
	v_fma_f64 v[56:57], v[249:250], s[4:5], v[28:29]
	v_add_f64 v[18:19], v[48:49], v[54:55]
	v_fma_f64 v[48:49], v[52:53], s[6:7], v[215:216]
	v_fma_f64 v[52:53], v[52:53], s[4:5], v[42:43]
	v_add_f64 v[2:3], v[185:186], v[94:95]
	v_fma_f64 v[92:93], v[100:101], s[6:7], v[112:113]
	v_fma_f64 v[94:95], v[100:101], s[4:5], v[102:103]
	;; [unrolled: 1-line block ×3, first 2 shown]
	v_add_f64 v[0:1], v[20:21], v[60:61]
	v_fma_f64 v[46:47], v[126:127], s[4:5], v[46:47]
	v_fma_f64 v[60:61], v[126:127], s[6:7], v[118:119]
	;; [unrolled: 1-line block ×10, first 2 shown]
	v_add_f64 v[199:200], v[239:240], v[241:242]
	v_fma_f64 v[44:45], v[170:171], s[8:9], v[40:41]
	v_fma_f64 v[40:41], v[170:171], s[10:11], v[40:41]
	;; [unrolled: 1-line block ×6, first 2 shown]
	v_add_f64 v[183:184], v[231:232], v[233:234]
	v_fma_f64 v[144:145], v[221:222], s[6:7], v[36:37]
	v_fma_f64 v[142:143], v[221:222], s[4:5], v[30:31]
	;; [unrolled: 1-line block ×6, first 2 shown]
	v_add_f64 v[16:17], v[22:23], v[50:51]
	v_add_f64 v[4:5], v[38:39], v[34:35]
	;; [unrolled: 1-line block ×3, first 2 shown]
	v_fma_f64 v[22:23], v[58:59], s[0:1], v[225:226]
	v_fma_f64 v[26:27], v[58:59], s[0:1], v[74:75]
	;; [unrolled: 1-line block ×30, first 2 shown]
	global_store_dwordx4 v[187:188], v[16:19], off
	global_store_dwordx4 v[189:190], v[64:67], off offset:1056
	global_store_dwordx4 v[191:192], v[56:59], off offset:64
	;; [unrolled: 1-line block ×5, first 2 shown]
	v_add_co_u32 v12, vcc_lo, 0x2000, v187
	v_lshlrev_b64 v[14:15], 4, v[72:73]
	v_add_co_ci_u32_e32 v13, vcc_lo, 0, v188, vcc_lo
	v_add_co_u32 v16, vcc_lo, 0x5800, v187
	v_add_co_ci_u32_e32 v17, vcc_lo, 0, v188, vcc_lo
	v_add_co_u32 v14, vcc_lo, v76, v14
	v_fma_f64 v[30:31], v[88:89], s[0:1], v[86:87]
	v_fma_f64 v[88:89], v[164:165], s[0:1], v[132:133]
	;; [unrolled: 1-line block ×3, first 2 shown]
	v_add_co_ci_u32_e32 v15, vcc_lo, v77, v15, vcc_lo
	v_fma_f64 v[80:81], v[160:161], s[0:1], v[124:125]
	v_fma_f64 v[78:79], v[166:167], s[0:1], v[134:135]
	global_store_dwordx4 v[12:13], v[102:105], off offset:448
	global_store_dwordx4 v[191:192], v[94:97], off offset:1504
	;; [unrolled: 1-line block ×4, first 2 shown]
	global_store_dwordx4 v[14:15], v[8:11], off
	v_mul_hi_u32 v12, 0x91a2b3c5, v180
	v_fma_f64 v[70:71], v[160:161], s[0:1], v[122:123]
	v_fma_f64 v[68:69], v[166:167], s[0:1], v[68:69]
	;; [unrolled: 1-line block ×4, first 2 shown]
	v_add_co_u32 v8, vcc_lo, 0x1800, v14
	v_add_co_ci_u32_e32 v9, vcc_lo, 0, v15, vcc_lo
	v_lshrrev_b32_e32 v16, 8, v12
	v_add_co_u32 v10, vcc_lo, 0x3800, v14
	v_add_co_ci_u32_e32 v11, vcc_lo, 0, v15, vcc_lo
	v_mad_u32_u24 v72, 0x708, v16, v180
	v_add_co_u32 v12, vcc_lo, 0x5000, v14
	v_add_co_ci_u32_e32 v13, vcc_lo, 0, v15, vcc_lo
	v_add_co_u32 v14, vcc_lo, 0x7000, v14
	v_fma_f64 v[50:51], v[128:129], s[0:1], v[110:111]
	v_fma_f64 v[48:49], v[156:157], s[0:1], v[120:121]
	v_lshlrev_b64 v[16:17], 4, v[72:73]
	v_fma_f64 v[40:41], v[146:147], s[0:1], v[114:115]
	v_add_co_ci_u32_e32 v15, vcc_lo, 0, v15, vcc_lo
	v_fma_f64 v[36:37], v[146:147], s[0:1], v[112:113]
	global_store_dwordx4 v[8:9], v[86:89], off offset:1056
	global_store_dwordx4 v[10:11], v[78:81], off offset:64
	global_store_dwordx4 v[12:13], v[68:71], off offset:1120
	global_store_dwordx4 v[14:15], v[82:85], off offset:128
	v_mul_hi_u32 v14, 0x91a2b3c5, v179
	v_add_co_u32 v8, vcc_lo, v76, v16
	v_add_co_ci_u32_e32 v9, vcc_lo, v77, v17, vcc_lo
	v_fma_f64 v[44:45], v[156:157], s[0:1], v[118:119]
	v_add_co_u32 v10, vcc_lo, 0x1800, v8
	v_lshrrev_b32_e32 v16, 8, v14
	v_add_co_ci_u32_e32 v11, vcc_lo, 0, v9, vcc_lo
	v_add_co_u32 v12, vcc_lo, 0x3800, v8
	v_add_co_ci_u32_e32 v13, vcc_lo, 0, v9, vcc_lo
	v_mad_u32_u24 v72, 0x708, v16, v179
	v_add_co_u32 v14, vcc_lo, 0x5000, v8
	v_add_co_ci_u32_e32 v15, vcc_lo, 0, v9, vcc_lo
	global_store_dwordx4 v[8:9], v[4:7], off
	global_store_dwordx4 v[10:11], v[48:51], off offset:1056
	global_store_dwordx4 v[12:13], v[40:43], off offset:64
	;; [unrolled: 1-line block ×3, first 2 shown]
	v_lshlrev_b64 v[4:5], 4, v[72:73]
	v_add_co_u32 v6, vcc_lo, 0x7000, v8
	v_add_co_ci_u32_e32 v7, vcc_lo, 0, v9, vcc_lo
	v_add_co_u32 v4, vcc_lo, v76, v4
	v_add_co_ci_u32_e32 v5, vcc_lo, v77, v5, vcc_lo
	global_store_dwordx4 v[6:7], v[44:47], off offset:128
	v_add_co_u32 v6, vcc_lo, 0x1800, v4
	v_add_co_ci_u32_e32 v7, vcc_lo, 0, v5, vcc_lo
	v_add_co_u32 v8, vcc_lo, 0x3800, v4
	v_add_co_ci_u32_e32 v9, vcc_lo, 0, v5, vcc_lo
	v_add_co_u32 v10, vcc_lo, 0x5000, v4
	v_add_co_ci_u32_e32 v11, vcc_lo, 0, v5, vcc_lo
	v_add_co_u32 v12, vcc_lo, 0x7000, v4
	v_add_co_ci_u32_e32 v13, vcc_lo, 0, v5, vcc_lo
	global_store_dwordx4 v[4:5], v[0:3], off
	global_store_dwordx4 v[6:7], v[32:35], off offset:1056
	global_store_dwordx4 v[8:9], v[24:27], off offset:64
	;; [unrolled: 1-line block ×4, first 2 shown]
.LBB0_35:
	s_endpgm
	.section	.rodata,"a",@progbits
	.p2align	6, 0x0
	.amdhsa_kernel fft_rtc_back_len2250_factors_10_3_5_3_5_wgs_90_tpt_90_halfLds_dp_ip_CI_unitstride_sbrr_dirReg
		.amdhsa_group_segment_fixed_size 0
		.amdhsa_private_segment_fixed_size 0
		.amdhsa_kernarg_size 88
		.amdhsa_user_sgpr_count 6
		.amdhsa_user_sgpr_private_segment_buffer 1
		.amdhsa_user_sgpr_dispatch_ptr 0
		.amdhsa_user_sgpr_queue_ptr 0
		.amdhsa_user_sgpr_kernarg_segment_ptr 1
		.amdhsa_user_sgpr_dispatch_id 0
		.amdhsa_user_sgpr_flat_scratch_init 0
		.amdhsa_user_sgpr_private_segment_size 0
		.amdhsa_wavefront_size32 1
		.amdhsa_uses_dynamic_stack 0
		.amdhsa_system_sgpr_private_segment_wavefront_offset 0
		.amdhsa_system_sgpr_workgroup_id_x 1
		.amdhsa_system_sgpr_workgroup_id_y 0
		.amdhsa_system_sgpr_workgroup_id_z 0
		.amdhsa_system_sgpr_workgroup_info 0
		.amdhsa_system_vgpr_workitem_id 0
		.amdhsa_next_free_vgpr 256
		.amdhsa_next_free_sgpr 21
		.amdhsa_reserve_vcc 1
		.amdhsa_reserve_flat_scratch 0
		.amdhsa_float_round_mode_32 0
		.amdhsa_float_round_mode_16_64 0
		.amdhsa_float_denorm_mode_32 3
		.amdhsa_float_denorm_mode_16_64 3
		.amdhsa_dx10_clamp 1
		.amdhsa_ieee_mode 1
		.amdhsa_fp16_overflow 0
		.amdhsa_workgroup_processor_mode 1
		.amdhsa_memory_ordered 1
		.amdhsa_forward_progress 0
		.amdhsa_shared_vgpr_count 0
		.amdhsa_exception_fp_ieee_invalid_op 0
		.amdhsa_exception_fp_denorm_src 0
		.amdhsa_exception_fp_ieee_div_zero 0
		.amdhsa_exception_fp_ieee_overflow 0
		.amdhsa_exception_fp_ieee_underflow 0
		.amdhsa_exception_fp_ieee_inexact 0
		.amdhsa_exception_int_div_zero 0
	.end_amdhsa_kernel
	.text
.Lfunc_end0:
	.size	fft_rtc_back_len2250_factors_10_3_5_3_5_wgs_90_tpt_90_halfLds_dp_ip_CI_unitstride_sbrr_dirReg, .Lfunc_end0-fft_rtc_back_len2250_factors_10_3_5_3_5_wgs_90_tpt_90_halfLds_dp_ip_CI_unitstride_sbrr_dirReg
                                        ; -- End function
	.section	.AMDGPU.csdata,"",@progbits
; Kernel info:
; codeLenInByte = 21480
; NumSgprs: 23
; NumVgprs: 256
; ScratchSize: 0
; MemoryBound: 1
; FloatMode: 240
; IeeeMode: 1
; LDSByteSize: 0 bytes/workgroup (compile time only)
; SGPRBlocks: 2
; VGPRBlocks: 31
; NumSGPRsForWavesPerEU: 23
; NumVGPRsForWavesPerEU: 256
; Occupancy: 4
; WaveLimiterHint : 1
; COMPUTE_PGM_RSRC2:SCRATCH_EN: 0
; COMPUTE_PGM_RSRC2:USER_SGPR: 6
; COMPUTE_PGM_RSRC2:TRAP_HANDLER: 0
; COMPUTE_PGM_RSRC2:TGID_X_EN: 1
; COMPUTE_PGM_RSRC2:TGID_Y_EN: 0
; COMPUTE_PGM_RSRC2:TGID_Z_EN: 0
; COMPUTE_PGM_RSRC2:TIDIG_COMP_CNT: 0
	.text
	.p2alignl 6, 3214868480
	.fill 48, 4, 3214868480
	.type	__hip_cuid_a293deaa73e1614f,@object ; @__hip_cuid_a293deaa73e1614f
	.section	.bss,"aw",@nobits
	.globl	__hip_cuid_a293deaa73e1614f
__hip_cuid_a293deaa73e1614f:
	.byte	0                               ; 0x0
	.size	__hip_cuid_a293deaa73e1614f, 1

	.ident	"AMD clang version 19.0.0git (https://github.com/RadeonOpenCompute/llvm-project roc-6.4.0 25133 c7fe45cf4b819c5991fe208aaa96edf142730f1d)"
	.section	".note.GNU-stack","",@progbits
	.addrsig
	.addrsig_sym __hip_cuid_a293deaa73e1614f
	.amdgpu_metadata
---
amdhsa.kernels:
  - .args:
      - .actual_access:  read_only
        .address_space:  global
        .offset:         0
        .size:           8
        .value_kind:     global_buffer
      - .offset:         8
        .size:           8
        .value_kind:     by_value
      - .actual_access:  read_only
        .address_space:  global
        .offset:         16
        .size:           8
        .value_kind:     global_buffer
      - .actual_access:  read_only
        .address_space:  global
        .offset:         24
        .size:           8
        .value_kind:     global_buffer
      - .offset:         32
        .size:           8
        .value_kind:     by_value
      - .actual_access:  read_only
        .address_space:  global
        .offset:         40
        .size:           8
        .value_kind:     global_buffer
      - .actual_access:  read_only
        .address_space:  global
        .offset:         48
        .size:           8
        .value_kind:     global_buffer
      - .offset:         56
        .size:           4
        .value_kind:     by_value
      - .actual_access:  read_only
        .address_space:  global
        .offset:         64
        .size:           8
        .value_kind:     global_buffer
      - .actual_access:  read_only
        .address_space:  global
        .offset:         72
        .size:           8
        .value_kind:     global_buffer
      - .address_space:  global
        .offset:         80
        .size:           8
        .value_kind:     global_buffer
    .group_segment_fixed_size: 0
    .kernarg_segment_align: 8
    .kernarg_segment_size: 88
    .language:       OpenCL C
    .language_version:
      - 2
      - 0
    .max_flat_workgroup_size: 90
    .name:           fft_rtc_back_len2250_factors_10_3_5_3_5_wgs_90_tpt_90_halfLds_dp_ip_CI_unitstride_sbrr_dirReg
    .private_segment_fixed_size: 0
    .sgpr_count:     23
    .sgpr_spill_count: 0
    .symbol:         fft_rtc_back_len2250_factors_10_3_5_3_5_wgs_90_tpt_90_halfLds_dp_ip_CI_unitstride_sbrr_dirReg.kd
    .uniform_work_group_size: 1
    .uses_dynamic_stack: false
    .vgpr_count:     256
    .vgpr_spill_count: 0
    .wavefront_size: 32
    .workgroup_processor_mode: 1
amdhsa.target:   amdgcn-amd-amdhsa--gfx1030
amdhsa.version:
  - 1
  - 2
...

	.end_amdgpu_metadata
